;; amdgpu-corpus repo=ROCm/rocFFT kind=compiled arch=gfx1100 opt=O3
	.text
	.amdgcn_target "amdgcn-amd-amdhsa--gfx1100"
	.amdhsa_code_object_version 6
	.protected	bluestein_single_fwd_len3000_dim1_sp_op_CI_CI ; -- Begin function bluestein_single_fwd_len3000_dim1_sp_op_CI_CI
	.globl	bluestein_single_fwd_len3000_dim1_sp_op_CI_CI
	.p2align	8
	.type	bluestein_single_fwd_len3000_dim1_sp_op_CI_CI,@function
bluestein_single_fwd_len3000_dim1_sp_op_CI_CI: ; @bluestein_single_fwd_len3000_dim1_sp_op_CI_CI
; %bb.0:
	s_load_b128 s[16:19], s[0:1], 0x28
	v_mul_u32_u24_e32 v1, 0x290, v0
	s_mov_b32 s2, exec_lo
	v_mov_b32_e32 v3, 0
	s_delay_alu instid0(VALU_DEP_2) | instskip(NEXT) | instid1(VALU_DEP_1)
	v_lshrrev_b32_e32 v1, 16, v1
	v_add_nc_u32_e32 v2, s15, v1
	s_waitcnt lgkmcnt(0)
	s_delay_alu instid0(VALU_DEP_1)
	v_cmpx_gt_u64_e64 s[16:17], v[2:3]
	s_cbranch_execz .LBB0_2
; %bb.1:
	s_clause 0x1
	s_load_b128 s[4:7], s[0:1], 0x18
	s_load_b128 s[8:11], s[0:1], 0x0
	v_mul_lo_u16 v1, 0x64, v1
	s_load_b64 s[0:1], s[0:1], 0x38
	v_mov_b32_e32 v6, v2
	s_delay_alu instid0(VALU_DEP_2) | instskip(SKIP_2) | instid1(VALU_DEP_1)
	v_sub_nc_u16 v44, v0, v1
	scratch_store_b64 off, v[6:7], off      ; 8-byte Folded Spill
	v_and_b32_e32 v127, 0xffff, v44
	v_lshlrev_b32_e32 v247, 3, v127
	s_waitcnt lgkmcnt(0)
	s_load_b128 s[12:15], s[4:5], 0x0
	s_clause 0x1
	global_load_b64 v[28:29], v247, s[8:9]
	global_load_b64 v[22:23], v247, s[8:9] offset:2400
	v_add_co_u32 v148, s2, s8, v247
	s_delay_alu instid0(VALU_DEP_1)
	v_add_co_ci_u32_e64 v149, null, s9, 0, s2
	s_waitcnt lgkmcnt(0)
	v_mad_u64_u32 v[0:1], null, s14, v2, 0
	v_mad_u64_u32 v[2:3], null, s12, v127, 0
	s_mul_i32 s3, s13, 0x960
	s_mul_hi_u32 s4, s12, 0x960
	s_mul_i32 s2, s12, 0x960
	s_add_i32 s3, s4, s3
	s_mul_i32 s4, s13, 0xffffaec0
	s_delay_alu instid0(VALU_DEP_1) | instskip(SKIP_1) | instid1(VALU_DEP_1)
	v_mad_u64_u32 v[4:5], null, s15, v6, v[1:2]
	s_sub_i32 s4, s4, s12
	v_mad_u64_u32 v[5:6], null, s13, v127, v[3:4]
	v_mov_b32_e32 v1, v4
	s_delay_alu instid0(VALU_DEP_1) | instskip(NEXT) | instid1(VALU_DEP_3)
	v_lshlrev_b64 v[0:1], 3, v[0:1]
	v_mov_b32_e32 v3, v5
	s_delay_alu instid0(VALU_DEP_2) | instskip(NEXT) | instid1(VALU_DEP_2)
	v_add_co_u32 v0, vcc_lo, s18, v0
	v_lshlrev_b64 v[2:3], 3, v[2:3]
	s_delay_alu instid0(VALU_DEP_4) | instskip(NEXT) | instid1(VALU_DEP_2)
	v_add_co_ci_u32_e32 v1, vcc_lo, s19, v1, vcc_lo
	v_add_co_u32 v0, vcc_lo, v0, v2
	s_delay_alu instid0(VALU_DEP_2) | instskip(NEXT) | instid1(VALU_DEP_2)
	v_add_co_ci_u32_e32 v1, vcc_lo, v1, v3, vcc_lo
	v_add_co_u32 v4, vcc_lo, v0, s2
	global_load_b64 v[2:3], v[0:1], off
	v_add_co_ci_u32_e32 v5, vcc_lo, s3, v1, vcc_lo
	global_load_b64 v[6:7], v[4:5], off
	v_add_co_u32 v0, vcc_lo, 0x1000, v148
	v_add_co_ci_u32_e32 v1, vcc_lo, 0, v149, vcc_lo
	v_add_co_u32 v4, vcc_lo, v4, s2
	v_add_co_ci_u32_e32 v5, vcc_lo, s3, v5, vcc_lo
	global_load_b64 v[26:27], v[0:1], off offset:704
	v_add_co_u32 v12, vcc_lo, v4, s2
	v_add_co_ci_u32_e32 v13, vcc_lo, s3, v5, vcc_lo
	global_load_b64 v[8:9], v[4:5], off
	global_load_b64 v[20:21], v[0:1], off offset:3104
	global_load_b64 v[10:11], v[12:13], off
	v_add_co_u32 v4, vcc_lo, 0x2000, v148
	v_add_co_ci_u32_e32 v5, vcc_lo, 0, v149, vcc_lo
	v_add_co_u32 v14, vcc_lo, v12, s2
	v_add_co_ci_u32_e32 v15, vcc_lo, s3, v13, vcc_lo
	s_waitcnt vmcnt(5)
	v_mul_f32_e32 v16, v3, v29
	global_load_b64 v[24:25], v[4:5], off offset:1408
	global_load_b64 v[12:13], v[14:15], off
	s_clause 0x1
	global_load_b64 v[53:54], v247, s[8:9] offset:800
	global_load_b64 v[51:52], v247, s[8:9] offset:1600
	v_mul_f32_e32 v17, v2, v29
	v_add_co_u32 v14, vcc_lo, v14, s2
	v_fmac_f32_e32 v16, v2, v28
	s_waitcnt vmcnt(8)
	v_mul_f32_e32 v18, v7, v23
	s_clause 0x1
	scratch_store_b64 off, v[22:23], off offset:136
	scratch_store_b64 off, v[28:29], off offset:224
	v_add_co_ci_u32_e32 v15, vcc_lo, s3, v15, vcc_lo
	v_fmac_f32_e32 v18, v6, v22
	s_clause 0x1
	global_load_b64 v[59:60], v[0:1], off offset:1504
	global_load_b64 v[47:48], v[0:1], off offset:2304
	v_add_nc_u32_e32 v142, 0x1c00, v247
	s_waitcnt vmcnt(9)
	scratch_store_b64 off, v[26:27], off offset:184 ; 8-byte Folded Spill
	v_add_nc_u32_e32 v250, 0x2800, v247
	v_add_nc_u32_e32 v217, 0x3000, v247
	;; [unrolled: 1-line block ×3, first 2 shown]
	s_waitcnt vmcnt(8)
	v_mul_f32_e32 v2, v9, v27
	v_mul_f32_e32 v19, v6, v23
	v_fma_f32 v17, v3, v28, -v17
	v_mul_f32_e32 v3, v8, v27
	s_waitcnt vmcnt(7)
	scratch_store_b64 off, v[20:21], off offset:32 ; 8-byte Folded Spill
	v_fmac_f32_e32 v2, v8, v26
	v_fma_f32 v19, v7, v22, -v19
	s_waitcnt vmcnt(6)
	v_mul_f32_e32 v6, v11, v21
	v_fma_f32 v3, v9, v26, -v3
	s_clause 0x2
	global_load_b64 v[55:56], v[4:5], off offset:2208
	global_load_b64 v[45:46], v[4:5], off offset:3008
	;; [unrolled: 1-line block ×3, first 2 shown]
	v_add_nc_u32_e32 v195, 0x4000, v247
	v_dual_fmac_f32 v6, v10, v20 :: v_dual_add_nc_u32 v189, 0x5400, v247
	v_add_nc_u32_e32 v251, 0x2400, v247
	s_waitcnt vmcnt(8)
	scratch_store_b64 off, v[24:25], off offset:176 ; 8-byte Folded Spill
	s_waitcnt vmcnt(7)
	v_mul_f32_e32 v8, v12, v25
	ds_store_b64 v247, v[18:19] offset:2400
	ds_store_b64 v247, v[2:3] offset:4800
	v_add_co_u32 v2, vcc_lo, v14, s2
	v_add_co_ci_u32_e32 v3, vcc_lo, s3, v15, vcc_lo
	v_fma_f32 v9, v13, v24, -v8
	v_mul_f32_e32 v8, v13, v25
	s_delay_alu instid0(VALU_DEP_1) | instskip(NEXT) | instid1(VALU_DEP_1)
	v_dual_mul_f32 v7, v10, v21 :: v_dual_fmac_f32 v8, v12, v24
	v_fma_f32 v7, v11, v20, -v7
	global_load_b64 v[10:11], v[4:5], off offset:3808
	global_load_b64 v[4:5], v[14:15], off
	ds_store_b64 v247, v[8:9] offset:9600
	ds_store_b64 v247, v[6:7] offset:7200
	s_waitcnt vmcnt(1)
	scratch_store_b64 off, v[10:11], off offset:24 ; 8-byte Folded Spill
	s_waitcnt vmcnt(0)
	v_mul_f32_e32 v6, v5, v11
	v_mul_f32_e32 v7, v4, v11
	s_delay_alu instid0(VALU_DEP_2) | instskip(SKIP_1) | instid1(VALU_DEP_3)
	v_fmac_f32_e32 v6, v4, v10
	v_add_co_u32 v4, vcc_lo, 0x3000, v148
	v_fma_f32 v7, v5, v10, -v7
	v_add_co_ci_u32_e32 v5, vcc_lo, 0, v149, vcc_lo
	v_add_co_u32 v8, vcc_lo, v2, s2
	v_add_co_ci_u32_e32 v9, vcc_lo, s3, v3, vcc_lo
	global_load_b64 v[2:3], v[2:3], off
	global_load_b64 v[12:13], v[4:5], off offset:2112
	s_waitcnt vmcnt(0)
	scratch_store_b64 off, v[12:13], off offset:160 ; 8-byte Folded Spill
	s_clause 0x1
	global_load_b64 v[57:58], v[4:5], off offset:2912
	global_load_b64 v[41:42], v[4:5], off offset:1312
	v_mul_f32_e32 v10, v2, v13
	s_delay_alu instid0(VALU_DEP_1) | instskip(SKIP_1) | instid1(VALU_DEP_1)
	v_fma_f32 v11, v3, v12, -v10
	v_mul_f32_e32 v10, v3, v13
	v_fmac_f32_e32 v10, v2, v12
	v_add_co_u32 v2, vcc_lo, 0x4000, v148
	v_add_co_ci_u32_e32 v3, vcc_lo, 0, v149, vcc_lo
	v_add_co_u32 v12, vcc_lo, v8, s2
	v_add_co_ci_u32_e32 v13, vcc_lo, s3, v9, vcc_lo
	global_load_b64 v[8:9], v[8:9], off
	global_load_b64 v[18:19], v[2:3], off offset:416
	s_waitcnt vmcnt(0)
	v_mul_f32_e32 v14, v8, v19
	scratch_store_b64 off, v[18:19], off offset:16 ; 8-byte Folded Spill
	s_clause 0x1
	global_load_b64 v[39:40], v[2:3], off offset:1216
	global_load_b64 v[31:32], v[2:3], off offset:2016
	v_fma_f32 v15, v9, v18, -v14
	v_mul_f32_e32 v14, v9, v19
	s_delay_alu instid0(VALU_DEP_1)
	v_fmac_f32_e32 v14, v8, v18
	v_add_co_u32 v8, vcc_lo, v12, s2
	v_add_co_ci_u32_e32 v9, vcc_lo, s3, v13, vcc_lo
	global_load_b64 v[12:13], v[12:13], off
	global_load_b64 v[20:21], v[2:3], off offset:2816
	v_add_co_u32 v245, vcc_lo, 0x5000, v148
	v_add_co_ci_u32_e32 v246, vcc_lo, 0, v149, vcc_lo
	s_waitcnt vmcnt(0)
	v_mul_f32_e32 v18, v12, v21
	scratch_store_b64 off, v[20:21], off offset:236 ; 8-byte Folded Spill
	v_fma_f32 v19, v13, v20, -v18
	v_mul_f32_e32 v18, v13, v21
	s_delay_alu instid0(VALU_DEP_1)
	v_fmac_f32_e32 v18, v12, v20
	global_load_b64 v[12:13], v[8:9], off
	global_load_b64 v[22:23], v[245:246], off offset:1120
	s_waitcnt vmcnt(0)
	v_mul_f32_e32 v20, v12, v23
	scratch_store_b64 off, v[22:23], off offset:8 ; 8-byte Folded Spill
	s_clause 0x2
	global_load_b64 v[35:36], v[245:246], off offset:1920
	global_load_b64 v[33:34], v[245:246], off offset:2720
	;; [unrolled: 1-line block ×3, first 2 shown]
	scratch_store_b64 off, v[53:54], off offset:208 ; 8-byte Folded Spill
	v_fma_f32 v21, v13, v22, -v20
	v_mul_f32_e32 v20, v13, v23
	s_delay_alu instid0(VALU_DEP_1) | instskip(SKIP_1) | instid1(VALU_DEP_1)
	v_fmac_f32_e32 v20, v12, v22
	v_mad_u64_u32 v[12:13], null, 0xffffaec0, s12, v[8:9]
	v_add_nc_u32_e32 v13, s4, v13
	global_load_b64 v[8:9], v[12:13], off
	s_waitcnt vmcnt(0)
	v_mul_f32_e32 v22, v8, v54
	s_delay_alu instid0(VALU_DEP_1) | instskip(SKIP_1) | instid1(VALU_DEP_1)
	v_fma_f32 v23, v9, v53, -v22
	v_mul_f32_e32 v22, v9, v54
	v_fmac_f32_e32 v22, v8, v53
	ds_store_b64 v247, v[6:7] offset:12000
	ds_store_b64 v247, v[10:11] offset:14400
	ds_store_b64 v247, v[14:15] offset:16800
	ds_store_b64 v247, v[18:19] offset:19200
	ds_store_b64 v247, v[20:21] offset:21600
	ds_store_2addr_b64 v247, v[16:17], v[22:23] offset1:100
	v_add_co_u32 v6, vcc_lo, v12, s2
	v_add_co_ci_u32_e32 v7, vcc_lo, s3, v13, vcc_lo
	s_delay_alu instid0(VALU_DEP_2) | instskip(NEXT) | instid1(VALU_DEP_2)
	v_add_co_u32 v8, vcc_lo, v6, s2
	v_add_co_ci_u32_e32 v9, vcc_lo, s3, v7, vcc_lo
	global_load_b64 v[6:7], v[6:7], off
	s_clause 0x1
	global_load_b64 v[12:13], v247, s[8:9] offset:3200
	global_load_b64 v[53:54], v247, s[8:9] offset:4000
	s_clause 0x4
	scratch_store_b64 off, v[47:48], off offset:152
	scratch_store_b64 off, v[55:56], off offset:200
	;; [unrolled: 1-line block ×5, first 2 shown]
	s_waitcnt vmcnt(1)
	v_mul_f32_e32 v10, v6, v13
	scratch_store_b64 off, v[12:13], off offset:128 ; 8-byte Folded Spill
	s_waitcnt vmcnt(0)
	scratch_store_b64 off, v[53:54], off offset:144 ; 8-byte Folded Spill
	v_fma_f32 v11, v7, v12, -v10
	v_mul_f32_e32 v10, v7, v13
	s_delay_alu instid0(VALU_DEP_1)
	v_fmac_f32_e32 v10, v6, v12
	v_add_co_u32 v6, vcc_lo, v8, s2
	v_add_co_ci_u32_e32 v7, vcc_lo, s3, v9, vcc_lo
	global_load_b64 v[8:9], v[8:9], off
	v_add_co_u32 v12, vcc_lo, v6, s2
	v_add_co_ci_u32_e32 v13, vcc_lo, s3, v7, vcc_lo
	s_delay_alu instid0(VALU_DEP_2) | instskip(NEXT) | instid1(VALU_DEP_2)
	v_add_co_u32 v14, vcc_lo, v12, s2
	v_add_co_ci_u32_e32 v15, vcc_lo, s3, v13, vcc_lo
	s_delay_alu instid0(VALU_DEP_2) | instskip(NEXT) | instid1(VALU_DEP_2)
	v_add_co_u32 v16, vcc_lo, v14, s2
	v_add_co_ci_u32_e32 v17, vcc_lo, s3, v15, vcc_lo
	s_delay_alu instid0(VALU_DEP_2) | instskip(NEXT) | instid1(VALU_DEP_2)
	v_add_co_u32 v18, vcc_lo, v16, s2
	v_add_co_ci_u32_e32 v19, vcc_lo, s3, v17, vcc_lo
	s_delay_alu instid0(VALU_DEP_2) | instskip(NEXT) | instid1(VALU_DEP_2)
	v_add_co_u32 v20, vcc_lo, v18, s2
	v_add_co_ci_u32_e32 v21, vcc_lo, s3, v19, vcc_lo
	s_delay_alu instid0(VALU_DEP_2) | instskip(NEXT) | instid1(VALU_DEP_2)
	v_add_co_u32 v22, vcc_lo, v20, s2
	v_add_co_ci_u32_e32 v23, vcc_lo, s3, v21, vcc_lo
	s_delay_alu instid0(VALU_DEP_1) | instskip(NEXT) | instid1(VALU_DEP_1)
	v_mad_u64_u32 v[24:25], null, 0xffffaec0, s12, v[22:23]
	v_add_nc_u32_e32 v25, s4, v25
	s_delay_alu instid0(VALU_DEP_2) | instskip(NEXT) | instid1(VALU_DEP_2)
	v_add_co_u32 v26, vcc_lo, v24, s2
	v_add_co_ci_u32_e32 v27, vcc_lo, s3, v25, vcc_lo
	global_load_b64 v[28:29], v[26:27], off
	s_waitcnt vmcnt(0)
	v_mul_f32_e32 v30, v28, v54
	s_delay_alu instid0(VALU_DEP_1) | instskip(SKIP_1) | instid1(VALU_DEP_1)
	v_fma_f32 v30, v29, v53, -v30
	v_mul_f32_e32 v29, v29, v54
	v_dual_fmac_f32 v29, v28, v53 :: v_dual_add_nc_u32 v28, 0x800, v247
	ds_store_2addr_b64 v28, v[10:11], v[29:30] offset0:144 offset1:244
	v_add_co_u32 v10, vcc_lo, v26, s2
	v_mul_f32_e32 v26, v8, v60
	v_add_co_ci_u32_e32 v11, vcc_lo, s3, v27, vcc_lo
	v_mov_b32_e32 v128, v28
	s_delay_alu instid0(VALU_DEP_3) | instskip(SKIP_1) | instid1(VALU_DEP_1)
	v_fma_f32 v27, v9, v59, -v26
	v_mul_f32_e32 v26, v9, v60
	v_fmac_f32_e32 v26, v8, v59
	global_load_b64 v[8:9], v[10:11], off
	s_waitcnt vmcnt(0)
	v_mul_f32_e32 v28, v8, v48
	s_delay_alu instid0(VALU_DEP_1) | instskip(SKIP_1) | instid1(VALU_DEP_1)
	v_fma_f32 v29, v9, v47, -v28
	v_mul_f32_e32 v28, v9, v48
	v_fmac_f32_e32 v28, v8, v47
	v_add_nc_u32_e32 v8, 0x1400, v247
	ds_store_2addr_b64 v8, v[26:27], v[28:29] offset0:60 offset1:160
	v_add_co_u32 v8, vcc_lo, v10, s2
	v_add_co_ci_u32_e32 v9, vcc_lo, s3, v11, vcc_lo
	global_load_b64 v[10:11], v[0:1], off offset:3904
	global_load_b64 v[0:1], v[6:7], off
	s_waitcnt vmcnt(1)
	scratch_store_b64 off, v[10:11], off offset:96 ; 8-byte Folded Spill
	s_waitcnt vmcnt(0)
	v_mul_f32_e32 v6, v0, v11
	s_delay_alu instid0(VALU_DEP_1) | instskip(SKIP_1) | instid1(VALU_DEP_1)
	v_fma_f32 v7, v1, v10, -v6
	v_mul_f32_e32 v6, v1, v11
	v_fmac_f32_e32 v6, v0, v10
	global_load_b64 v[0:1], v[8:9], off
	s_waitcnt vmcnt(0)
	v_mul_f32_e32 v10, v0, v50
	s_delay_alu instid0(VALU_DEP_1) | instskip(SKIP_1) | instid1(VALU_DEP_1)
	v_fma_f32 v11, v1, v49, -v10
	v_mul_f32_e32 v10, v1, v50
	v_fmac_f32_e32 v10, v0, v49
	v_add_co_u32 v0, vcc_lo, v8, s2
	v_add_co_ci_u32_e32 v1, vcc_lo, s3, v9, vcc_lo
	ds_store_2addr_b64 v142, v[6:7], v[10:11] offset0:104 offset1:204
	global_load_b64 v[6:7], v[12:13], off
	global_load_b64 v[9:10], v[0:1], off
	v_add_co_u32 v0, vcc_lo, v0, s2
	v_add_co_ci_u32_e32 v1, vcc_lo, s3, v1, vcc_lo
	s_waitcnt vmcnt(1)
	v_mul_f32_e32 v8, v6, v56
	s_delay_alu instid0(VALU_DEP_1) | instskip(SKIP_2) | instid1(VALU_DEP_1)
	v_fma_f32 v8, v7, v55, -v8
	v_mul_f32_e32 v7, v7, v56
	s_waitcnt vmcnt(0)
	v_dual_fmac_f32 v7, v6, v55 :: v_dual_mul_f32 v6, v9, v46
	s_delay_alu instid0(VALU_DEP_1) | instskip(SKIP_1) | instid1(VALU_DEP_1)
	v_fma_f32 v11, v10, v45, -v6
	v_mul_f32_e32 v10, v10, v46
	v_fmac_f32_e32 v10, v9, v45
	ds_store_2addr_b64 v250, v[7:8], v[10:11] offset0:20 offset1:120
	global_load_b64 v[6:7], v[14:15], off
	global_load_b64 v[9:10], v[4:5], off offset:512
	s_clause 0x5
	scratch_store_b64 off, v[39:40], off offset:72
	scratch_store_b64 off, v[31:32], off offset:80
	;; [unrolled: 1-line block ×6, first 2 shown]
	s_load_b128 s[4:7], s[6:7], 0x0
	v_add_nc_u32_e32 v14, 0x4800, v247
	scratch_store_b64 off, v[51:52], off offset:168 ; 8-byte Folded Spill
	s_waitcnt vmcnt(0)
	v_mul_f32_e32 v8, v6, v10
	scratch_store_b64 off, v[9:10], off offset:120 ; 8-byte Folded Spill
	v_fma_f32 v8, v7, v9, -v8
	v_mul_f32_e32 v7, v7, v10
	s_delay_alu instid0(VALU_DEP_1)
	v_fmac_f32_e32 v7, v6, v9
	global_load_b64 v[9:10], v[0:1], off
	v_add_co_u32 v0, vcc_lo, v0, s2
	v_add_co_ci_u32_e32 v1, vcc_lo, s3, v1, vcc_lo
	s_waitcnt vmcnt(0)
	v_mul_f32_e32 v6, v9, v42
	s_delay_alu instid0(VALU_DEP_1) | instskip(SKIP_1) | instid1(VALU_DEP_1)
	v_fma_f32 v11, v10, v41, -v6
	v_mul_f32_e32 v10, v10, v42
	v_fmac_f32_e32 v10, v9, v41
	ds_store_2addr_b64 v217, v[7:8], v[10:11] offset0:64 offset1:164
	global_load_b64 v[6:7], v[16:17], off
	global_load_b64 v[9:10], v[4:5], off offset:3712
	global_load_b64 v[4:5], v[0:1], off
	v_add_co_u32 v0, vcc_lo, v0, s2
	v_add_co_ci_u32_e32 v1, vcc_lo, s3, v1, vcc_lo
	s_waitcnt vmcnt(2)
	v_mul_f32_e32 v8, v6, v58
	s_waitcnt vmcnt(1)
	scratch_store_b64 off, v[9:10], off offset:64 ; 8-byte Folded Spill
	v_fma_f32 v8, v7, v57, -v8
	v_mul_f32_e32 v7, v7, v58
	s_waitcnt vmcnt(0)
	s_delay_alu instid0(VALU_DEP_1) | instskip(NEXT) | instid1(VALU_DEP_1)
	v_dual_fmac_f32 v7, v6, v57 :: v_dual_mul_f32 v6, v4, v10
	v_fma_f32 v6, v5, v9, -v6
	v_mul_f32_e32 v5, v5, v10
	s_delay_alu instid0(VALU_DEP_1)
	v_fmac_f32_e32 v5, v4, v9
	ds_store_2addr_b64 v143, v[7:8], v[5:6] offset0:108 offset1:208
	global_load_b64 v[4:5], v[18:19], off
	global_load_b64 v[7:8], v[0:1], off
	v_add_co_u32 v0, vcc_lo, v0, s2
	v_add_co_ci_u32_e32 v1, vcc_lo, s3, v1, vcc_lo
	s_waitcnt vmcnt(1)
	v_mul_f32_e32 v6, v4, v40
	s_delay_alu instid0(VALU_DEP_1) | instskip(SKIP_2) | instid1(VALU_DEP_1)
	v_fma_f32 v6, v5, v39, -v6
	v_mul_f32_e32 v5, v5, v40
	s_waitcnt vmcnt(0)
	v_dual_fmac_f32 v5, v4, v39 :: v_dual_mul_f32 v4, v7, v32
	s_delay_alu instid0(VALU_DEP_1) | instskip(SKIP_1) | instid1(VALU_DEP_1)
	v_fma_f32 v9, v8, v31, -v4
	v_mul_f32_e32 v8, v8, v32
	v_fmac_f32_e32 v8, v7, v31
	v_add_nc_u32_e32 v31, 0x1800, v247
	ds_store_2addr_b64 v195, v[5:6], v[8:9] offset0:152 offset1:252
	global_load_b64 v[5:6], v[2:3], off offset:3616
	global_load_b64 v[2:3], v[20:21], off
	scratch_store_b64 off, v[57:58], off offset:192 ; 8-byte Folded Spill
	v_dual_mov_b32 v133, v31 :: v_dual_add_nc_u32 v8, 0x1000, v247
	s_delay_alu instid0(VALU_DEP_1) | instskip(SKIP_4) | instid1(VALU_DEP_1)
	v_mov_b32_e32 v130, v8
	s_waitcnt vmcnt(1)
	scratch_store_b64 off, v[5:6], off offset:272 ; 8-byte Folded Spill
	s_waitcnt vmcnt(0)
	v_mul_f32_e32 v4, v2, v6
	v_fma_f32 v4, v3, v5, -v4
	v_mul_f32_e32 v3, v3, v6
	s_delay_alu instid0(VALU_DEP_1)
	v_fmac_f32_e32 v3, v2, v5
	global_load_b64 v[5:6], v[0:1], off
	v_add_co_u32 v0, vcc_lo, v0, s2
	v_add_co_ci_u32_e32 v1, vcc_lo, s3, v1, vcc_lo
	s_waitcnt lgkmcnt(0)
	s_mul_hi_u32 s3, s4, 0x960
	global_load_b64 v[0:1], v[0:1], off
	s_waitcnt vmcnt(1)
	v_mul_f32_e32 v2, v5, v38
	s_delay_alu instid0(VALU_DEP_1) | instskip(SKIP_2) | instid1(VALU_DEP_2)
	v_fma_f32 v7, v6, v37, -v2
	v_mul_f32_e32 v6, v6, v38
	v_add_nc_u32_e32 v2, 0x4c00, v247
	v_fmac_f32_e32 v6, v5, v37
	ds_store_2addr_b64 v2, v[3:4], v[6:7] offset0:68 offset1:168
	global_load_b64 v[2:3], v[22:23], off
	s_waitcnt vmcnt(0)
	v_mul_f32_e32 v4, v2, v36
	s_delay_alu instid0(VALU_DEP_1) | instskip(SKIP_1) | instid1(VALU_DEP_1)
	v_fma_f32 v4, v3, v35, -v4
	v_mul_f32_e32 v3, v3, v36
	v_dual_fmac_f32 v3, v2, v35 :: v_dual_mul_f32 v2, v0, v34
	s_delay_alu instid0(VALU_DEP_1) | instskip(SKIP_1) | instid1(VALU_DEP_1)
	v_fma_f32 v2, v1, v33, -v2
	v_mul_f32_e32 v1, v1, v34
	v_fmac_f32_e32 v1, v0, v33
	ds_store_2addr_b64 v189, v[3:4], v[1:2] offset0:112 offset1:212
	global_load_b64 v[0:1], v[24:25], off
	s_waitcnt vmcnt(0)
	v_mul_f32_e32 v2, v0, v52
	s_delay_alu instid0(VALU_DEP_1) | instskip(SKIP_1) | instid1(VALU_DEP_1)
	v_fma_f32 v2, v1, v51, -v2
	v_mul_f32_e32 v1, v1, v52
	v_fmac_f32_e32 v1, v0, v51
	ds_store_b64 v247, v[1:2] offset:1600
	s_waitcnt lgkmcnt(0)
	s_waitcnt_vscnt null, 0x0
	s_barrier
	buffer_gl0_inv
	ds_load_2addr_b64 v[0:3], v247 offset1:100
	ds_load_2addr_b64 v[4:7], v8 offset0:88 offset1:188
	ds_load_2addr_b64 v[8:11], v251 offset0:48 offset1:148
	;; [unrolled: 1-line block ×3, first 2 shown]
	s_waitcnt lgkmcnt(2)
	v_add_f32_e32 v12, v0, v4
	s_waitcnt lgkmcnt(1)
	v_sub_f32_e32 v76, v4, v8
	s_waitcnt lgkmcnt(0)
	v_add_f32_e32 v41, v8, v34
	v_dual_sub_f32 v27, v9, v35 :: v_dual_sub_f32 v56, v8, v4
	v_dual_add_f32 v19, v12, v8 :: v_dual_add_f32 v12, v1, v5
	v_add_f32_e32 v42, v9, v35
	v_dual_sub_f32 v28, v8, v34 :: v_dual_sub_f32 v77, v5, v9
	v_sub_f32_e32 v58, v9, v5
	s_delay_alu instid0(VALU_DEP_4) | instskip(SKIP_3) | instid1(VALU_DEP_4)
	v_dual_add_f32 v23, v12, v9 :: v_dual_add_f32 v12, v2, v6
	v_add_f32_e32 v16, v10, v36
	v_sub_f32_e32 v25, v6, v10
	v_dual_sub_f32 v17, v10, v6 :: v_dual_add_f32 v18, v11, v37
	v_add_f32_e32 v24, v12, v10
	v_dual_add_f32 v12, v3, v7 :: v_dual_sub_f32 v13, v10, v36
	v_sub_f32_e32 v26, v7, v11
	v_sub_f32_e32 v20, v11, v7
	s_delay_alu instid0(VALU_DEP_3)
	v_dual_add_f32 v29, v12, v11 :: v_dual_sub_f32 v12, v11, v37
	ds_load_2addr_b64 v[8:11], v14 offset0:96 offset1:196
	s_waitcnt lgkmcnt(0)
	v_add_f32_e32 v61, v4, v8
	v_dual_sub_f32 v33, v4, v8 :: v_dual_add_f32 v4, v19, v34
	v_add_nc_u32_e32 v19, 0x5000, v247
	v_add_f32_e32 v59, v5, v9
	v_add_f32_e32 v21, v6, v10
	v_dual_sub_f32 v15, v6, v10 :: v_dual_add_f32 v22, v7, v11
	v_add_f32_e32 v6, v24, v36
	v_dual_sub_f32 v84, v8, v34 :: v_dual_sub_f32 v65, v34, v8
	v_add_f32_e32 v52, v4, v8
	v_add_nc_u32_e32 v8, 0x400, v247
	ds_load_2addr_b64 v[78:81], v19 offset0:40 offset1:140
	v_mov_b32_e32 v132, v14
	v_sub_f32_e32 v32, v5, v9
	v_sub_f32_e32 v14, v7, v11
	v_add_f32_e32 v5, v23, v35
	v_add_f32_e32 v7, v29, v37
	v_dual_sub_f32 v85, v9, v35 :: v_dual_sub_f32 v66, v35, v9
	v_sub_f32_e32 v34, v10, v36
	v_dual_sub_f32 v30, v36, v10 :: v_dual_sub_f32 v35, v11, v37
	v_sub_f32_e32 v29, v37, v11
	v_add_f32_e32 v53, v5, v9
	v_dual_add_f32 v23, v6, v10 :: v_dual_add_f32 v24, v7, v11
	ds_load_2addr_b64 v[4:7], v8 offset0:72 offset1:172
	v_mov_b32_e32 v134, v8
	ds_load_2addr_b64 v[8:11], v31 offset0:32 offset1:132
	ds_load_2addr_b64 v[86:89], v250 offset0:120 offset1:220
	v_mov_b32_e32 v131, v19
	v_add_f32_e32 v77, v77, v85
	v_fma_f32 v61, -0.5, v61, v0
	v_fma_f32 v0, -0.5, v41, v0
	s_waitcnt lgkmcnt(1)
	v_add_f32_e32 v38, v6, v10
	s_waitcnt lgkmcnt(0)
	v_dual_sub_f32 v48, v11, v81 :: v_dual_sub_f32 v93, v10, v88
	v_dual_add_f32 v70, v10, v80 :: v_dual_sub_f32 v73, v88, v10
	v_add_f32_e32 v39, v7, v11
	v_dual_sub_f32 v49, v10, v80 :: v_dual_sub_f32 v94, v11, v89
	v_dual_add_f32 v69, v11, v81 :: v_dual_sub_f32 v74, v89, v11
	v_dual_add_f32 v10, v4, v8 :: v_dual_add_f32 v11, v5, v9
	v_dual_add_f32 v43, v38, v88 :: v_dual_add_nc_u32 v38, 0x3c00, v247
	v_sub_f32_e32 v19, v9, v79
	v_sub_f32_e32 v37, v8, v86
	v_add_f32_e32 v36, v8, v78
	v_dual_sub_f32 v40, v86, v8 :: v_dual_sub_f32 v31, v8, v78
	v_add_f32_e32 v46, v9, v79
	v_dual_sub_f32 v51, v9, v87 :: v_dual_sub_f32 v50, v87, v9
	v_add_f32_e32 v55, v10, v86
	v_add_f32_e32 v57, v11, v87
	ds_load_2addr_b64 v[8:11], v38 offset0:80 offset1:180
	v_dual_add_f32 v45, v39, v89 :: v_dual_mov_b32 v136, v38
	s_waitcnt lgkmcnt(0)
	v_dual_sub_f32 v112, v10, v80 :: v_dual_add_f32 v43, v43, v10
	s_delay_alu instid0(VALU_DEP_2) | instskip(SKIP_1) | instid1(VALU_DEP_3)
	v_add_f32_e32 v45, v45, v11
	v_dual_add_f32 v55, v55, v8 :: v_dual_add_f32 v56, v56, v65
	v_add_f32_e32 v65, v73, v112
	v_fmamk_f32 v73, v27, 0xbf737871, v61
	v_fmac_f32_e32 v61, 0x3f737871, v27
	v_add_f32_e32 v115, v43, v80
	v_dual_add_f32 v43, v55, v78 :: v_dual_sub_f32 v108, v89, v11
	s_delay_alu instid0(VALU_DEP_4) | instskip(NEXT) | instid1(VALU_DEP_4)
	v_dual_fmac_f32 v73, 0x3f167918, v32 :: v_dual_sub_f32 v110, v88, v10
	v_dual_fmac_f32 v61, 0xbf167918, v32 :: v_dual_sub_f32 v38, v87, v9
	s_delay_alu instid0(VALU_DEP_2) | instskip(SKIP_1) | instid1(VALU_DEP_3)
	v_dual_add_f32 v54, v87, v9 :: v_dual_fmac_f32 v73, 0x3e9e377a, v56
	v_add_f32_e32 v107, v88, v10
	v_fmac_f32_e32 v61, 0x3e9e377a, v56
	v_fma_f32 v56, -0.5, v59, v1
	v_add_f32_e32 v64, v57, v9
	v_add_f32_e32 v109, v89, v11
	v_add_f32_e32 v47, v86, v8
	v_sub_f32_e32 v39, v86, v8
	v_fmamk_f32 v59, v28, 0x3f737871, v56
	v_sub_f32_e32 v111, v80, v10
	v_dual_sub_f32 v113, v81, v11 :: v_dual_sub_f32 v62, v78, v8
	v_dual_sub_f32 v60, v8, v78 :: v_dual_sub_f32 v63, v79, v9
	v_sub_f32_e32 v57, v9, v79
	v_add_f32_e32 v116, v45, v81
	v_fmac_f32_e32 v59, 0xbf167918, v33
	v_sub_f32_e32 v114, v11, v81
	ds_load_2addr_b64 v[8:11], v128 offset0:144 offset1:244
	ds_load_2addr_b64 v[80:83], v142 offset0:104 offset1:204
	;; [unrolled: 1-line block ×5, first 2 shown]
	v_dual_fmac_f32 v56, 0xbf737871, v28 :: v_dual_add_f32 v45, v64, v79
	v_fmamk_f32 v41, v32, 0x3f737871, v0
	v_fma_f32 v1, -0.5, v42, v1
	s_waitcnt lgkmcnt(0)
	s_barrier
	buffer_gl0_inv
	v_fmac_f32_e32 v41, 0x3f167918, v27
	v_add_f32_e32 v67, v8, v80
	v_sub_f32_e32 v75, v101, v82
	v_add_f32_e32 v58, v58, v66
	v_add_f32_e32 v78, v10, v82
	;; [unrolled: 1-line block ×3, first 2 shown]
	v_sub_f32_e32 v71, v82, v101
	v_sub_f32_e32 v64, v82, v97
	v_sub_f32_e32 v82, v102, v83
	v_add_f32_e32 v87, v67, v99
	v_sub_f32_e32 v91, v106, v98
	v_add_f32_e32 v85, v94, v113
	v_fmac_f32_e32 v56, 0x3f167918, v33
	v_fmac_f32_e32 v59, 0x3e9e377a, v58
	v_add_f32_e32 v66, v74, v114
	v_dual_add_f32 v68, v9, v81 :: v_dual_add_f32 v117, v80, v95
	v_dual_sub_f32 v89, v81, v96 :: v_dual_sub_f32 v118, v80, v99
	v_sub_f32_e32 v119, v99, v80
	v_add_f32_e32 v120, v81, v96
	v_dual_sub_f32 v90, v80, v95 :: v_dual_sub_f32 v121, v81, v100
	v_dual_sub_f32 v122, v100, v81 :: v_dual_sub_f32 v55, v83, v98
	v_add_f32_e32 v81, v83, v98
	v_add_f32_e32 v80, v11, v83
	v_dual_sub_f32 v79, v83, v102 :: v_dual_add_f32 v88, v68, v100
	v_add_f32_e32 v123, v99, v103
	v_dual_sub_f32 v126, v99, v103 :: v_dual_add_f32 v83, v101, v105
	v_sub_f32_e32 v67, v101, v105
	v_dual_add_f32 v99, v87, v103 :: v_dual_add_f32 v76, v76, v84
	v_dual_add_f32 v78, v78, v101 :: v_dual_sub_f32 v101, v95, v103
	v_fmac_f32_e32 v56, 0x3e9e377a, v58
	v_fma_f32 v58, -0.5, v70, v6
	v_sub_f32_e32 v68, v102, v106
	v_dual_add_f32 v86, v102, v106 :: v_dual_fmac_f32 v41, 0x3e9e377a, v76
	v_add_f32_e32 v80, v80, v102
	s_delay_alu instid0(VALU_DEP_4) | instskip(SKIP_3) | instid1(VALU_DEP_4)
	v_fmamk_f32 v70, v108, 0xbf737871, v58
	v_fmac_f32_e32 v58, 0x3f737871, v108
	v_dual_sub_f32 v102, v103, v95 :: v_dual_sub_f32 v103, v104, v96
	v_fma_f32 v6, -0.5, v107, v6
	v_fmac_f32_e32 v70, 0x3f167918, v48
	s_delay_alu instid0(VALU_DEP_4) | instskip(SKIP_2) | instid1(VALU_DEP_4)
	v_fmac_f32_e32 v58, 0xbf167918, v48
	v_dual_add_f32 v84, v93, v111 :: v_dual_add_f32 v125, v100, v104
	v_sub_f32_e32 v87, v97, v105
	v_fmac_f32_e32 v70, 0x3e9e377a, v65
	s_delay_alu instid0(VALU_DEP_4)
	v_fmac_f32_e32 v58, 0x3e9e377a, v65
	v_fma_f32 v65, -0.5, v69, v7
	v_fma_f32 v7, -0.5, v109, v7
	v_sub_f32_e32 v92, v105, v97
	v_fmamk_f32 v42, v33, 0xbf737871, v1
	v_fmac_f32_e32 v1, 0x3f737871, v33
	v_fmamk_f32 v69, v110, 0x3f737871, v65
	v_fmac_f32_e32 v65, 0xbf737871, v110
	;; [unrolled: 2-line block ×3, first 2 shown]
	s_delay_alu instid0(VALU_DEP_4) | instskip(NEXT) | instid1(VALU_DEP_4)
	v_dual_add_f32 v32, v26, v35 :: v_dual_fmac_f32 v69, 0xbf167918, v49
	v_fmac_f32_e32 v65, 0x3f167918, v49
	s_delay_alu instid0(VALU_DEP_4) | instskip(SKIP_1) | instid1(VALU_DEP_4)
	v_dual_fmac_f32 v74, 0xbf167918, v110 :: v_dual_add_f32 v33, v118, v101
	v_fmac_f32_e32 v7, 0x3f737871, v49
	v_fmac_f32_e32 v69, 0x3e9e377a, v66
	s_delay_alu instid0(VALU_DEP_4)
	v_fmac_f32_e32 v65, 0x3e9e377a, v66
	v_fmamk_f32 v66, v48, 0x3f737871, v6
	v_fmac_f32_e32 v74, 0x3e9e377a, v85
	v_fmac_f32_e32 v6, 0xbf737871, v48
	;; [unrolled: 1-line block ×8, first 2 shown]
	s_delay_alu instid0(VALU_DEP_4) | instskip(SKIP_1) | instid1(VALU_DEP_4)
	v_dual_add_f32 v93, v52, v115 :: v_dual_fmac_f32 v66, 0x3e9e377a, v84
	v_add_f32_e32 v94, v53, v116
	v_fmac_f32_e32 v6, 0x3e9e377a, v84
	v_fma_f32 v35, -0.5, v123, v8
	v_fmac_f32_e32 v1, 0x3e9e377a, v77
	v_mul_f32_e32 v107, 0x3f4f1bbd, v66
	v_mul_f32_e32 v66, 0xbf167918, v66
	v_fmac_f32_e32 v42, 0xbf167918, v28
	v_mul_f32_e32 v27, 0xbf4f1bbd, v6
	s_delay_alu instid0(VALU_DEP_4) | instskip(NEXT) | instid1(VALU_DEP_4)
	v_fmac_f32_e32 v107, 0x3f167918, v74
	v_fmac_f32_e32 v66, 0x3f4f1bbd, v74
	v_mul_f32_e32 v74, 0x3f737871, v69
	v_fmac_f32_e32 v42, 0x3e9e377a, v77
	v_fmac_f32_e32 v27, 0x3f167918, v7
	v_mul_f32_e32 v7, 0xbf4f1bbd, v7
	s_delay_alu instid0(VALU_DEP_4) | instskip(SKIP_3) | instid1(VALU_DEP_3)
	v_fmac_f32_e32 v74, 0x3e9e377a, v70
	v_add_f32_e32 v78, v78, v105
	v_dual_sub_f32 v124, v100, v104 :: v_dual_add_f32 v105, v99, v95
	v_dual_add_f32 v95, v41, v107 :: v_dual_add_f32 v80, v80, v106
	v_dual_add_f32 v78, v78, v97 :: v_dual_add_f32 v97, v73, v74
	v_mul_f32_e32 v70, 0xbf737871, v70
	v_add_f32_e32 v100, v88, v104
	v_sub_f32_e32 v104, v96, v104
	v_sub_f32_e32 v88, v98, v106
	v_add_f32_e32 v80, v80, v98
	v_fmac_f32_e32 v70, 0x3e9e377a, v69
	v_dual_mul_f32 v69, 0xbe9e377a, v58 :: v_dual_add_f32 v106, v100, v96
	v_add_f32_e32 v96, v42, v66
	v_fmac_f32_e32 v7, 0xbf167918, v6
	s_delay_alu instid0(VALU_DEP_3) | instskip(SKIP_1) | instid1(VALU_DEP_2)
	v_dual_add_f32 v98, v59, v70 :: v_dual_fmac_f32 v69, 0x3f737871, v65
	v_mul_f32_e32 v65, 0xbe9e377a, v65
	v_add_f32_e32 v99, v61, v69
	s_delay_alu instid0(VALU_DEP_2) | instskip(SKIP_1) | instid1(VALU_DEP_2)
	v_fmac_f32_e32 v65, 0xbf737871, v58
	v_mul_lo_u16 v58, v44, 10
	v_add_f32_e32 v100, v56, v65
	s_delay_alu instid0(VALU_DEP_2) | instskip(NEXT) | instid1(VALU_DEP_1)
	v_and_b32_e32 v58, 0xffff, v58
	v_lshlrev_b32_e32 v248, 3, v58
	ds_store_b128 v248, v[93:96]
	ds_store_b128 v248, v[97:100] offset:16
	v_sub_f32_e32 v97, v41, v107
	v_fma_f32 v41, -0.5, v125, v9
	v_add_f32_e32 v94, v1, v7
	v_dual_sub_f32 v95, v52, v115 :: v_dual_sub_f32 v96, v53, v116
	s_delay_alu instid0(VALU_DEP_3) | instskip(SKIP_3) | instid1(VALU_DEP_4)
	v_dual_sub_f32 v99, v73, v74 :: v_dual_fmamk_f32 v6, v90, 0xbf737871, v41
	v_fmac_f32_e32 v41, 0x3f737871, v90
	v_sub_f32_e32 v98, v42, v66
	v_sub_f32_e32 v100, v59, v70
	v_fmac_f32_e32 v6, 0xbf167918, v126
	s_delay_alu instid0(VALU_DEP_4) | instskip(SKIP_1) | instid1(VALU_DEP_1)
	v_fmac_f32_e32 v41, 0x3f167918, v126
	v_fmac_f32_e32 v0, 0x3e9e377a, v76
	v_add_f32_e32 v93, v0, v27
	ds_store_b128 v248, v[93:96] offset:32
	ds_store_b128 v248, v[97:100] offset:48
	v_sub_f32_e32 v96, v1, v7
	v_add_f32_e32 v1, v25, v34
	v_add_f32_e32 v34, v121, v104
	v_sub_f32_e32 v93, v61, v69
	s_delay_alu instid0(VALU_DEP_2) | instskip(SKIP_2) | instid1(VALU_DEP_2)
	v_fmac_f32_e32 v41, 0x3e9e377a, v34
	v_dual_sub_f32 v95, v0, v27 :: v_dual_fmamk_f32 v0, v89, 0x3f737871, v35
	v_fmac_f32_e32 v35, 0xbf737871, v89
	v_fmac_f32_e32 v0, 0x3f167918, v124
	s_delay_alu instid0(VALU_DEP_2) | instskip(NEXT) | instid1(VALU_DEP_2)
	v_fmac_f32_e32 v35, 0xbf167918, v124
	v_fmac_f32_e32 v0, 0x3e9e377a, v33
	s_delay_alu instid0(VALU_DEP_2) | instskip(NEXT) | instid1(VALU_DEP_2)
	v_fmac_f32_e32 v35, 0x3e9e377a, v33
	v_mul_f32_e32 v42, 0x3f4f1bbd, v0
	v_mul_f32_e32 v48, 0xbf167918, v0
	v_add_f32_e32 v0, v17, v30
	v_fma_f32 v17, -0.5, v18, v3
	v_fma_f32 v18, -0.5, v21, v2
	;; [unrolled: 1-line block ×3, first 2 shown]
	v_fmac_f32_e32 v3, -0.5, v22
	s_delay_alu instid0(VALU_DEP_4) | instskip(NEXT) | instid1(VALU_DEP_4)
	v_fmamk_f32 v53, v15, 0xbf737871, v17
	v_fmamk_f32 v21, v12, 0xbf737871, v18
	s_delay_alu instid0(VALU_DEP_4) | instskip(SKIP_3) | instid1(VALU_DEP_4)
	v_fmamk_f32 v16, v14, 0x3f737871, v2
	v_fmac_f32_e32 v2, 0xbf737871, v14
	v_fmac_f32_e32 v18, 0x3f737871, v12
	;; [unrolled: 1-line block ×3, first 2 shown]
	v_dual_fmac_f32 v21, 0x3f167918, v14 :: v_dual_fmac_f32 v16, 0x3f167918, v12
	s_delay_alu instid0(VALU_DEP_4) | instskip(NEXT) | instid1(VALU_DEP_4)
	v_fmac_f32_e32 v2, 0xbf167918, v12
	v_fmac_f32_e32 v18, 0xbf167918, v14
	s_delay_alu instid0(VALU_DEP_4) | instskip(NEXT) | instid1(VALU_DEP_4)
	v_fmac_f32_e32 v53, 0x3e9e377a, v32
	v_dual_fmac_f32 v21, 0x3e9e377a, v0 :: v_dual_fmac_f32 v16, 0x3e9e377a, v1
	s_delay_alu instid0(VALU_DEP_4) | instskip(SKIP_4) | instid1(VALU_DEP_3)
	v_fmac_f32_e32 v2, 0x3e9e377a, v1
	v_mul_f32_e32 v1, 0xbf4f1bbd, v35
	v_fmac_f32_e32 v6, 0x3e9e377a, v34
	v_fmac_f32_e32 v18, 0x3e9e377a, v0
	v_dual_add_f32 v0, v119, v102 :: v_dual_fmac_f32 v17, 0x3f737871, v15
	v_dual_fmac_f32 v1, 0x3f167918, v41 :: v_dual_fmac_f32 v42, 0x3f167918, v6
	v_fmac_f32_e32 v48, 0x3f4f1bbd, v6
	v_dual_add_f32 v6, v20, v29 :: v_dual_fmamk_f32 v29, v13, 0x3f737871, v3
	v_fmac_f32_e32 v3, 0xbf737871, v13
	v_fmac_f32_e32 v17, 0x3f167918, v13
	v_sub_f32_e32 v94, v56, v65
	s_delay_alu instid0(VALU_DEP_4) | instskip(NEXT) | instid1(VALU_DEP_4)
	v_dual_add_f32 v14, v37, v62 :: v_dual_fmac_f32 v29, 0xbf167918, v15
	v_fmac_f32_e32 v3, 0x3f167918, v15
	s_delay_alu instid0(VALU_DEP_4) | instskip(SKIP_1) | instid1(VALU_DEP_4)
	v_fmac_f32_e32 v17, 0x3e9e377a, v32
	v_add_f32_e32 v15, v51, v63
	v_fmac_f32_e32 v29, 0x3e9e377a, v6
	s_delay_alu instid0(VALU_DEP_4) | instskip(SKIP_2) | instid1(VALU_DEP_2)
	v_fmac_f32_e32 v3, 0x3e9e377a, v6
	v_fma_f32 v6, -0.5, v117, v8
	v_fma_f32 v8, -0.5, v120, v9
	v_fmamk_f32 v7, v124, 0xbf737871, v6
	v_fmac_f32_e32 v6, 0x3f737871, v124
	s_delay_alu instid0(VALU_DEP_3) | instskip(SKIP_1) | instid1(VALU_DEP_4)
	v_fmamk_f32 v9, v126, 0x3f737871, v8
	v_fmac_f32_e32 v8, 0xbf737871, v126
	v_fmac_f32_e32 v7, 0x3f167918, v89
	s_delay_alu instid0(VALU_DEP_3) | instskip(NEXT) | instid1(VALU_DEP_3)
	v_dual_fmac_f32 v6, 0xbf167918, v89 :: v_dual_fmac_f32 v9, 0xbf167918, v90
	v_fmac_f32_e32 v8, 0x3f167918, v90
	ds_store_b128 v248, v[93:96] offset:64
	v_fmac_f32_e32 v7, 0x3e9e377a, v0
	v_fmac_f32_e32 v6, 0x3e9e377a, v0
	v_add_f32_e32 v0, v122, v103
	s_delay_alu instid0(VALU_DEP_3) | instskip(NEXT) | instid1(VALU_DEP_3)
	v_mul_f32_e32 v30, 0xbf737871, v7
	v_mul_f32_e32 v49, 0xbe9e377a, v6
	s_delay_alu instid0(VALU_DEP_3) | instskip(SKIP_2) | instid1(VALU_DEP_3)
	v_fmac_f32_e32 v9, 0x3e9e377a, v0
	v_fmac_f32_e32 v8, 0x3e9e377a, v0
	v_add_co_u32 v0, null, 0x64, v127
	v_mul_f32_e32 v22, 0x3f737871, v9
	s_delay_alu instid0(VALU_DEP_3) | instskip(NEXT) | instid1(VALU_DEP_3)
	v_mul_f32_e32 v52, 0xbe9e377a, v8
	v_mul_u32_u24_e32 v20, 10, v0
	v_fmac_f32_e32 v30, 0x3e9e377a, v9
	v_fmac_f32_e32 v49, 0x3f737871, v8
	;; [unrolled: 1-line block ×4, first 2 shown]
	v_add_f32_e32 v6, v23, v105
	v_add_f32_e32 v8, v16, v42
	;; [unrolled: 1-line block ×4, first 2 shown]
	v_dual_add_f32 v25, v21, v22 :: v_dual_lshlrev_b32 v56, 3, v20
	v_dual_add_f32 v27, v18, v49 :: v_dual_add_f32 v26, v29, v30
	v_add_f32_e32 v28, v3, v52
	ds_store_b128 v56, v[6:9]
	ds_store_b128 v56, v[25:28] offset:16
	v_fma_f32 v27, -0.5, v47, v4
	v_sub_f32_e32 v20, v16, v42
	v_dual_sub_f32 v8, v23, v105 :: v_dual_sub_f32 v9, v24, v106
	v_sub_f32_e32 v22, v21, v22
	s_delay_alu instid0(VALU_DEP_4) | instskip(SKIP_3) | instid1(VALU_DEP_4)
	v_fmamk_f32 v28, v19, 0x3f737871, v27
	v_dual_fmac_f32 v27, 0xbf737871, v19 :: v_dual_add_f32 v6, v2, v1
	v_sub_f32_e32 v21, v53, v48
	v_sub_f32_e32 v23, v29, v30
	v_fmac_f32_e32 v28, 0x3f167918, v38
	s_delay_alu instid0(VALU_DEP_4) | instskip(NEXT) | instid1(VALU_DEP_2)
	v_dual_fmac_f32 v27, 0xbf167918, v38 :: v_dual_add_f32 v16, v71, v87
	v_fmac_f32_e32 v28, 0x3e9e377a, v14
	s_delay_alu instid0(VALU_DEP_2) | instskip(SKIP_1) | instid1(VALU_DEP_1)
	v_fmac_f32_e32 v27, 0x3e9e377a, v14
	v_mul_f32_e32 v12, 0xbf4f1bbd, v41
	v_fmac_f32_e32 v12, 0xbf167918, v35
	s_delay_alu instid0(VALU_DEP_1)
	v_add_f32_e32 v7, v17, v12
	ds_store_b128 v56, v[6:9] offset:32
	ds_store_b128 v56, v[20:23] offset:48
	v_fma_f32 v21, -0.5, v54, v5
	v_dual_sub_f32 v7, v3, v52 :: v_dual_sub_f32 v8, v2, v1
	v_sub_f32_e32 v9, v17, v12
	v_fma_f32 v3, -0.5, v72, v10
	s_delay_alu instid0(VALU_DEP_4)
	v_fmamk_f32 v29, v31, 0xbf737871, v21
	v_fmac_f32_e32 v21, 0x3f737871, v31
	v_fma_f32 v10, -0.5, v83, v10
	v_fma_f32 v12, -0.5, v86, v11
	v_fmac_f32_e32 v11, -0.5, v81
	v_add_f32_e32 v1, v75, v92
	v_dual_fmac_f32 v21, 0x3f167918, v39 :: v_dual_sub_f32 v6, v18, v49
	v_fma_f32 v22, -0.5, v36, v4
	v_dual_add_f32 v2, v82, v91 :: v_dual_fmac_f32 v5, -0.5, v46
	s_delay_alu instid0(VALU_DEP_3)
	v_fmac_f32_e32 v21, 0x3e9e377a, v15
	ds_store_b128 v56, v[6:9] offset:64
	v_fmamk_f32 v6, v68, 0xbf737871, v3
	v_dual_fmac_f32 v3, 0x3f737871, v68 :: v_dual_fmamk_f32 v8, v55, 0x3f737871, v10
	v_fmamk_f32 v7, v67, 0x3f737871, v11
	v_fmac_f32_e32 v10, 0xbf737871, v55
	v_fmac_f32_e32 v11, 0xbf737871, v67
	s_delay_alu instid0(VALU_DEP_4)
	v_fmac_f32_e32 v3, 0xbf167918, v55
	v_fmac_f32_e32 v8, 0x3f167918, v68
	v_fmamk_f32 v9, v64, 0xbf737871, v12
	v_fmac_f32_e32 v7, 0xbf167918, v64
	v_fmac_f32_e32 v12, 0x3f737871, v64
	;; [unrolled: 1-line block ×4, first 2 shown]
	v_dual_fmac_f32 v3, 0x3e9e377a, v1 :: v_dual_fmac_f32 v8, 0x3e9e377a, v16
	v_fmamk_f32 v23, v38, 0xbf737871, v22
	v_fmac_f32_e32 v22, 0x3f737871, v38
	v_dual_fmac_f32 v6, 0x3f167918, v55 :: v_dual_add_f32 v17, v79, v88
	v_fmac_f32_e32 v9, 0xbf167918, v67
	v_fmac_f32_e32 v7, 0x3e9e377a, v2
	;; [unrolled: 1-line block ×3, first 2 shown]
	v_dual_fmac_f32 v10, 0x3e9e377a, v16 :: v_dual_fmac_f32 v11, 0x3e9e377a, v2
	v_mul_f32_e32 v13, 0xbe9e377a, v3
	v_mul_f32_e32 v18, 0x3f4f1bbd, v8
	;; [unrolled: 1-line block ×3, first 2 shown]
	v_dual_add_f32 v8, v40, v60 :: v_dual_fmac_f32 v23, 0x3f167918, v19
	v_fmac_f32_e32 v22, 0xbf167918, v19
	v_fmamk_f32 v24, v39, 0x3f737871, v5
	v_fmac_f32_e32 v5, 0xbf737871, v39
	v_fmac_f32_e32 v6, 0x3e9e377a, v1
	v_fmac_f32_e32 v9, 0x3e9e377a, v17
	v_mul_f32_e32 v25, 0x3f737871, v7
	v_fmac_f32_e32 v29, 0xbf167918, v39
	v_add_co_u32 v52, null, 0xc8, v127
	v_fmac_f32_e32 v12, 0x3e9e377a, v17
	v_mul_f32_e32 v14, 0xbf4f1bbd, v10
	v_fmac_f32_e32 v13, 0x3f737871, v11
	v_mul_f32_e32 v11, 0xbe9e377a, v11
	v_fmac_f32_e32 v23, 0x3e9e377a, v8
	v_fmac_f32_e32 v22, 0x3e9e377a, v8
	v_dual_add_f32 v8, v50, v57 :: v_dual_and_b32 v53, 0xffff, v52
	v_fmac_f32_e32 v24, 0xbf167918, v31
	v_fmac_f32_e32 v5, 0x3f167918, v31
	v_mul_f32_e32 v26, 0xbf737871, v6
	v_fmac_f32_e32 v18, 0x3f167918, v9
	v_fmac_f32_e32 v20, 0x3f4f1bbd, v9
	;; [unrolled: 1-line block ×4, first 2 shown]
	v_mul_u32_u24_e32 v6, 10, v52
	v_fmac_f32_e32 v14, 0x3f167918, v12
	v_mul_f32_e32 v12, 0xbf4f1bbd, v12
	v_fmac_f32_e32 v24, 0x3e9e377a, v8
	v_dual_fmac_f32 v5, 0x3e9e377a, v8 :: v_dual_fmac_f32 v26, 0x3e9e377a, v7
	v_fmac_f32_e32 v11, 0xbf737871, v3
	v_add_f32_e32 v1, v43, v78
	v_dual_add_f32 v3, v28, v18 :: v_dual_add_f32 v2, v45, v80
	v_add_f32_e32 v4, v29, v20
	v_lshlrev_b32_e32 v30, 3, v6
	v_fmac_f32_e32 v12, 0xbf167918, v10
	v_add_f32_e32 v6, v23, v25
	v_dual_add_f32 v8, v22, v13 :: v_dual_add_f32 v7, v24, v26
	v_add_f32_e32 v9, v5, v11
	scratch_store_b32 off, v56, off offset:316 ; 4-byte Folded Spill
	ds_store_b128 v30, v[1:4]
	ds_store_b128 v30, v[6:9] offset:16
	v_dual_sub_f32 v3, v43, v78 :: v_dual_sub_f32 v4, v45, v80
	v_dual_add_f32 v1, v27, v14 :: v_dual_add_f32 v2, v21, v12
	v_sub_f32_e32 v6, v28, v18
	v_dual_sub_f32 v8, v23, v25 :: v_dual_sub_f32 v7, v29, v20
	v_sub_f32_e32 v9, v24, v26
	scratch_store_b32 off, v30, off offset:312 ; 4-byte Folded Spill
	ds_store_b128 v30, v[1:4] offset:32
	ds_store_b128 v30, v[6:9] offset:48
	v_dual_sub_f32 v2, v5, v11 :: v_dual_sub_f32 v1, v22, v13
	v_dual_sub_f32 v4, v21, v12 :: v_dual_mov_b32 v13, v131
	v_sub_f32_e32 v3, v27, v14
	v_mov_b32_e32 v15, v134
	v_mov_b32_e32 v19, v128
	v_mov_b32_e32 v17, v136
	ds_store_b128 v30, v[1:4] offset:64
	v_and_b32_e32 v2, 0xff, v44
	s_waitcnt lgkmcnt(0)
	s_waitcnt_vscnt null, 0x0
	s_barrier
	buffer_gl0_inv
	v_mov_b32_e32 v191, v19
	v_mul_lo_u16 v1, 0xcd, v2
	s_delay_alu instid0(VALU_DEP_1) | instskip(SKIP_1) | instid1(VALU_DEP_2)
	v_lshrrev_b16 v4, 11, v1
	v_and_b32_e32 v1, 0xff, v0
	v_mul_lo_u16 v5, v4, 10
	s_delay_alu instid0(VALU_DEP_2) | instskip(SKIP_1) | instid1(VALU_DEP_3)
	v_mul_lo_u16 v3, 0xcd, v1
	v_mul_lo_u16 v1, 0x89, v1
	v_sub_nc_u16 v5, v44, v5
	s_delay_alu instid0(VALU_DEP_3) | instskip(NEXT) | instid1(VALU_DEP_1)
	v_lshrrev_b16 v3, 11, v3
	v_mul_lo_u16 v6, v3, 10
	v_and_b32_e32 v3, 0xffff, v3
	s_delay_alu instid0(VALU_DEP_2) | instskip(SKIP_1) | instid1(VALU_DEP_3)
	v_sub_nc_u16 v7, v0, v6
	v_and_b32_e32 v6, 0xff, v5
	v_mul_u32_u24_e32 v3, 30, v3
	s_delay_alu instid0(VALU_DEP_3) | instskip(NEXT) | instid1(VALU_DEP_3)
	v_and_b32_e32 v5, 0xff, v7
	v_lshlrev_b32_e32 v7, 4, v6
	s_delay_alu instid0(VALU_DEP_2)
	v_lshlrev_b32_e32 v8, 4, v5
	s_clause 0x1
	global_load_b128 v[231:234], v7, s[10:11]
	global_load_b128 v[252:255], v8, s[10:11]
	ds_load_2addr_b64 v[7:10], v142 offset0:104 offset1:204
	v_add_lshl_u32 v5, v3, v5, 3
	s_waitcnt vmcnt(1) lgkmcnt(0)
	v_mul_f32_e32 v11, v8, v232
	v_mul_f32_e32 v99, v7, v232
	s_waitcnt vmcnt(0)
	v_mul_f32_e32 v81, v9, v253
	s_delay_alu instid0(VALU_DEP_3) | instskip(SKIP_2) | instid1(VALU_DEP_4)
	v_fma_f32 v98, v7, v231, -v11
	v_mul_f32_e32 v7, v10, v253
	v_fmac_f32_e32 v99, v8, v231
	v_fmac_f32_e32 v81, v10, v252
	s_delay_alu instid0(VALU_DEP_3) | instskip(SKIP_4) | instid1(VALU_DEP_2)
	v_fma_f32 v78, v9, v252, -v7
	ds_load_2addr_b64 v[7:10], v136 offset0:80 offset1:180
	s_waitcnt lgkmcnt(0)
	v_mul_f32_e32 v11, v8, v234
	v_dual_mul_f32 v101, v7, v234 :: v_dual_mul_f32 v88, v9, v255
	v_fma_f32 v100, v7, v233, -v11
	v_mul_f32_e32 v7, v10, v255
	s_delay_alu instid0(VALU_DEP_3) | instskip(NEXT) | instid1(VALU_DEP_3)
	v_dual_fmac_f32 v101, v8, v233 :: v_dual_fmac_f32 v88, v10, v254
	v_sub_f32_e32 v119, v98, v100
	s_delay_alu instid0(VALU_DEP_3) | instskip(SKIP_1) | instid1(VALU_DEP_4)
	v_fma_f32 v85, v9, v254, -v7
	v_add_co_u32 v7, null, 0x12c, v127
	v_add_f32_e32 v103, v99, v101
	v_mov_b32_e32 v12, v127
	s_delay_alu instid0(VALU_DEP_3) | instskip(NEXT) | instid1(VALU_DEP_1)
	v_and_b32_e32 v8, 0xffff, v7
	v_mul_u32_u24_e32 v8, 0xcccd, v8
	s_delay_alu instid0(VALU_DEP_1) | instskip(NEXT) | instid1(VALU_DEP_1)
	v_lshrrev_b32_e32 v60, 19, v8
	v_mul_lo_u16 v8, v60, 10
	s_delay_alu instid0(VALU_DEP_1) | instskip(SKIP_1) | instid1(VALU_DEP_2)
	v_sub_nc_u16 v61, v7, v8
	v_mul_u32_u24_e32 v7, 0xcccd, v53
	v_lshlrev_b16 v8, 1, v61
	s_delay_alu instid0(VALU_DEP_2) | instskip(NEXT) | instid1(VALU_DEP_2)
	v_lshrrev_b32_e32 v74, 19, v7
	v_and_b32_e32 v8, 0xffff, v8
	s_delay_alu instid0(VALU_DEP_2) | instskip(NEXT) | instid1(VALU_DEP_2)
	v_mul_lo_u16 v7, v74, 10
	v_lshlrev_b32_e32 v8, 3, v8
	s_delay_alu instid0(VALU_DEP_2) | instskip(NEXT) | instid1(VALU_DEP_1)
	v_sub_nc_u16 v75, v52, v7
	v_lshlrev_b16 v7, 1, v75
	v_mad_u16 v74, v74, 30, v75
	s_delay_alu instid0(VALU_DEP_2) | instskip(NEXT) | instid1(VALU_DEP_1)
	v_and_b32_e32 v7, 0xffff, v7
	v_lshlrev_b32_e32 v7, 3, v7
	s_clause 0x1
	global_load_b128 v[223:226], v7, s[10:11]
	global_load_b128 v[227:230], v8, s[10:11]
	ds_load_2addr_b64 v[7:10], v251 offset0:48 offset1:148
	s_waitcnt vmcnt(1) lgkmcnt(0)
	v_mul_f32_e32 v11, v8, v224
	v_mul_f32_e32 v89, v7, v224
	s_waitcnt vmcnt(0)
	v_mul_f32_e32 v68, v9, v228
	s_delay_alu instid0(VALU_DEP_3) | instskip(SKIP_2) | instid1(VALU_DEP_4)
	v_fma_f32 v84, v7, v223, -v11
	v_mul_f32_e32 v7, v10, v228
	v_fmac_f32_e32 v89, v8, v223
	v_fmac_f32_e32 v68, v10, v227
	s_delay_alu instid0(VALU_DEP_3)
	v_fma_f32 v64, v9, v227, -v7
	ds_load_2addr_b64 v[7:10], v195 offset0:152 offset1:252
	s_waitcnt lgkmcnt(0)
	v_mul_f32_e32 v11, v8, v226
	v_mul_f32_e32 v93, v7, v226
	;; [unrolled: 1-line block ×3, first 2 shown]
	s_delay_alu instid0(VALU_DEP_3) | instskip(SKIP_1) | instid1(VALU_DEP_4)
	v_fma_f32 v92, v7, v225, -v11
	v_mul_f32_e32 v7, v10, v230
	v_fmac_f32_e32 v93, v8, v225
	s_delay_alu instid0(VALU_DEP_4) | instskip(SKIP_1) | instid1(VALU_DEP_4)
	v_fmac_f32_e32 v72, v10, v229
	v_sub_f32_e32 v118, v99, v101
	v_fma_f32 v71, v9, v229, -v7
	v_add_co_u32 v7, null, 0x190, v127
	v_and_b32_e32 v4, 0xffff, v4
	s_delay_alu instid0(VALU_DEP_2) | instskip(NEXT) | instid1(VALU_DEP_2)
	v_and_b32_e32 v8, 0xffff, v7
	v_mul_u32_u24_e32 v4, 30, v4
	s_delay_alu instid0(VALU_DEP_2) | instskip(NEXT) | instid1(VALU_DEP_1)
	v_mul_u32_u24_e32 v8, 0xcccd, v8
	v_lshrrev_b32_e32 v65, 19, v8
	s_delay_alu instid0(VALU_DEP_1) | instskip(NEXT) | instid1(VALU_DEP_1)
	v_mul_lo_u16 v8, v65, 10
	v_sub_nc_u16 v66, v7, v8
	v_add_co_u32 v7, null, 0x1f4, v127
	s_delay_alu instid0(VALU_DEP_1) | instskip(NEXT) | instid1(VALU_DEP_1)
	v_and_b32_e32 v8, 0xffff, v7
	v_mul_u32_u24_e32 v8, 0xcccd, v8
	s_delay_alu instid0(VALU_DEP_1) | instskip(NEXT) | instid1(VALU_DEP_1)
	v_lshrrev_b32_e32 v62, 19, v8
	v_mul_lo_u16 v8, v62, 10
	s_delay_alu instid0(VALU_DEP_1) | instskip(SKIP_1) | instid1(VALU_DEP_2)
	v_sub_nc_u16 v63, v7, v8
	v_lshlrev_b16 v7, 1, v66
	v_lshlrev_b16 v8, 1, v63
	s_delay_alu instid0(VALU_DEP_2) | instskip(NEXT) | instid1(VALU_DEP_2)
	v_and_b32_e32 v7, 0xffff, v7
	v_and_b32_e32 v8, 0xffff, v8
	s_delay_alu instid0(VALU_DEP_2) | instskip(NEXT) | instid1(VALU_DEP_2)
	v_lshlrev_b32_e32 v7, 3, v7
	v_lshlrev_b32_e32 v8, 3, v8
	s_clause 0x1
	global_load_b128 v[176:179], v7, s[10:11]
	global_load_b128 v[219:222], v8, s[10:11]
	ds_load_2addr_b64 v[7:10], v250 offset0:120 offset1:220
	s_waitcnt vmcnt(1) lgkmcnt(0)
	v_mul_f32_e32 v11, v8, v177
	s_waitcnt vmcnt(0)
	v_dual_mul_f32 v82, v7, v177 :: v_dual_mul_f32 v73, v9, v220
	s_delay_alu instid0(VALU_DEP_2) | instskip(SKIP_1) | instid1(VALU_DEP_3)
	v_fma_f32 v77, v7, v176, -v11
	v_mul_f32_e32 v7, v10, v220
	v_dual_fmac_f32 v82, v8, v176 :: v_dual_fmac_f32 v73, v10, v219
	s_delay_alu instid0(VALU_DEP_2) | instskip(SKIP_4) | instid1(VALU_DEP_2)
	v_fma_f32 v70, v9, v219, -v7
	ds_load_2addr_b64 v[7:10], v132 offset0:96 offset1:196
	s_waitcnt lgkmcnt(0)
	v_mul_f32_e32 v11, v8, v179
	v_dual_mul_f32 v90, v7, v179 :: v_dual_mul_f32 v79, v9, v222
	v_fma_f32 v86, v7, v178, -v11
	v_mul_f32_e32 v7, v10, v222
	s_delay_alu instid0(VALU_DEP_3) | instskip(NEXT) | instid1(VALU_DEP_2)
	v_dual_fmac_f32 v90, v8, v178 :: v_dual_fmac_f32 v79, v10, v221
	v_fma_f32 v76, v9, v221, -v7
	v_add_co_u32 v7, null, 0x258, v127
	s_delay_alu instid0(VALU_DEP_1) | instskip(NEXT) | instid1(VALU_DEP_1)
	v_and_b32_e32 v8, 0xffff, v7
	v_mul_u32_u24_e32 v8, 0xcccd, v8
	s_delay_alu instid0(VALU_DEP_1) | instskip(NEXT) | instid1(VALU_DEP_1)
	v_lshrrev_b32_e32 v67, 19, v8
	v_mul_lo_u16 v8, v67, 10
	s_delay_alu instid0(VALU_DEP_1) | instskip(SKIP_1) | instid1(VALU_DEP_1)
	v_sub_nc_u16 v69, v7, v8
	v_add_co_u32 v7, null, 0x2bc, v127
	v_and_b32_e32 v8, 0xffff, v7
	s_delay_alu instid0(VALU_DEP_1) | instskip(NEXT) | instid1(VALU_DEP_1)
	v_mul_u32_u24_e32 v8, 0xcccd, v8
	v_lshrrev_b32_e32 v51, 19, v8
	s_delay_alu instid0(VALU_DEP_1) | instskip(NEXT) | instid1(VALU_DEP_1)
	v_mul_lo_u16 v8, v51, 10
	v_sub_nc_u16 v54, v7, v8
	v_lshlrev_b16 v7, 1, v69
	s_delay_alu instid0(VALU_DEP_2) | instskip(NEXT) | instid1(VALU_DEP_2)
	v_lshlrev_b16 v8, 1, v54
	v_and_b32_e32 v7, 0xffff, v7
	s_delay_alu instid0(VALU_DEP_2) | instskip(NEXT) | instid1(VALU_DEP_2)
	v_and_b32_e32 v8, 0xffff, v8
	v_lshlrev_b32_e32 v7, 3, v7
	s_delay_alu instid0(VALU_DEP_2)
	v_lshlrev_b32_e32 v8, 3, v8
	s_clause 0x1
	global_load_b128 v[32:35], v7, s[10:11]
	global_load_b128 v[172:175], v8, s[10:11]
	ds_load_2addr_b64 v[7:10], v217 offset0:64 offset1:164
	scratch_store_b32 off, v12, off offset:232 ; 4-byte Folded Spill
	s_waitcnt vmcnt(1) lgkmcnt(0)
	v_mul_f32_e32 v11, v8, v33
	v_mul_f32_e32 v83, v7, v33
	s_waitcnt vmcnt(0)
	v_mul_f32_e32 v57, v9, v173
	s_delay_alu instid0(VALU_DEP_3) | instskip(SKIP_2) | instid1(VALU_DEP_4)
	v_fma_f32 v80, v7, v32, -v11
	v_mul_f32_e32 v7, v10, v173
	v_fmac_f32_e32 v83, v8, v32
	v_fmac_f32_e32 v57, v10, v172
	s_delay_alu instid0(VALU_DEP_3)
	v_fma_f32 v56, v9, v172, -v7
	ds_load_2addr_b64 v[7:10], v131 offset0:40 offset1:140
	s_waitcnt lgkmcnt(0)
	v_mul_f32_e32 v11, v8, v35
	v_mul_f32_e32 v91, v7, v35
	;; [unrolled: 1-line block ×3, first 2 shown]
	v_mul_lo_u16 v2, 0x89, v2
	s_delay_alu instid0(VALU_DEP_4) | instskip(SKIP_4) | instid1(VALU_DEP_4)
	v_fma_f32 v87, v7, v34, -v11
	v_mul_f32_e32 v7, v10, v175
	v_fmac_f32_e32 v91, v8, v34
	v_fmac_f32_e32 v59, v10, v174
	v_add_lshl_u32 v4, v4, v6, 3
	v_fma_f32 v58, v9, v174, -v7
	v_add_co_u32 v7, null, 0x320, v127
	s_delay_alu instid0(VALU_DEP_1) | instskip(NEXT) | instid1(VALU_DEP_1)
	v_and_b32_e32 v8, 0xffff, v7
	v_mul_u32_u24_e32 v8, 0xcccd, v8
	s_delay_alu instid0(VALU_DEP_1) | instskip(NEXT) | instid1(VALU_DEP_1)
	v_lshrrev_b32_e32 v9, 19, v8
	v_mul_lo_u16 v8, v9, 10
	s_delay_alu instid0(VALU_DEP_1) | instskip(SKIP_1) | instid1(VALU_DEP_2)
	v_sub_nc_u16 v10, v7, v8
	v_add_co_u32 v8, null, 0x384, v127
	v_mad_u16 v9, v9, 30, v10
	s_delay_alu instid0(VALU_DEP_2) | instskip(NEXT) | instid1(VALU_DEP_1)
	v_and_b32_e32 v7, 0xffff, v8
	v_mul_u32_u24_e32 v7, 0xcccd, v7
	s_delay_alu instid0(VALU_DEP_1) | instskip(NEXT) | instid1(VALU_DEP_1)
	v_lshrrev_b32_e32 v7, 19, v7
	v_mul_lo_u16 v11, v7, 10
	s_delay_alu instid0(VALU_DEP_1) | instskip(SKIP_1) | instid1(VALU_DEP_2)
	v_sub_nc_u16 v8, v8, v11
	v_lshlrev_b16 v11, 1, v10
	v_lshlrev_b16 v36, 1, v8
	s_delay_alu instid0(VALU_DEP_2) | instskip(NEXT) | instid1(VALU_DEP_2)
	v_and_b32_e32 v11, 0xffff, v11
	v_and_b32_e32 v36, 0xffff, v36
	s_delay_alu instid0(VALU_DEP_2) | instskip(NEXT) | instid1(VALU_DEP_2)
	v_lshlrev_b32_e32 v11, 3, v11
	v_lshlrev_b32_e32 v36, 3, v36
	s_clause 0x1
	global_load_b128 v[40:43], v11, s[10:11]
	global_load_b128 v[36:39], v36, s[10:11]
	ds_load_2addr_b64 v[94:97], v143 offset0:8 offset1:108
	scratch_store_b32 off, v4, off offset:256 ; 4-byte Folded Spill
	s_waitcnt vmcnt(1) lgkmcnt(0)
	v_mul_f32_e32 v11, v95, v41
	v_mul_f32_e32 v48, v94, v41
	s_waitcnt vmcnt(0)
	v_mul_f32_e32 v45, v96, v37
	s_delay_alu instid0(VALU_DEP_3) | instskip(NEXT) | instid1(VALU_DEP_3)
	v_fma_f32 v46, v94, v40, -v11
	v_dual_mul_f32 v11, v97, v37 :: v_dual_fmac_f32 v48, v95, v40
	s_delay_alu instid0(VALU_DEP_3) | instskip(NEXT) | instid1(VALU_DEP_2)
	v_fmac_f32_e32 v45, v97, v36
	v_fma_f32 v11, v96, v36, -v11
	ds_load_2addr_b64 v[94:97], v189 offset0:112 offset1:212
	s_waitcnt lgkmcnt(0)
	v_mul_f32_e32 v47, v95, v43
	v_mul_f32_e32 v55, v94, v43
	;; [unrolled: 1-line block ×3, first 2 shown]
	s_delay_alu instid0(VALU_DEP_3) | instskip(SKIP_1) | instid1(VALU_DEP_4)
	v_fma_f32 v50, v94, v42, -v47
	v_mul_f32_e32 v47, v97, v39
	v_fmac_f32_e32 v55, v95, v42
	s_delay_alu instid0(VALU_DEP_4) | instskip(NEXT) | instid1(VALU_DEP_3)
	v_fmac_f32_e32 v49, v97, v38
	v_fma_f32 v47, v96, v38, -v47
	ds_load_2addr_b64 v[94:97], v247 offset1:100
	s_waitcnt lgkmcnt(0)
	v_dual_add_f32 v102, v95, v99 :: v_dual_add_f32 v99, v94, v98
	v_fma_f32 v95, -0.5, v103, v95
	s_delay_alu instid0(VALU_DEP_2) | instskip(SKIP_1) | instid1(VALU_DEP_3)
	v_dual_add_f32 v115, v102, v101 :: v_dual_add_f32 v114, v99, v100
	v_add_f32_e32 v99, v98, v100
	v_fmamk_f32 v117, v119, 0xbf5db3d7, v95
	v_fmac_f32_e32 v95, 0x3f5db3d7, v119
	s_delay_alu instid0(VALU_DEP_3)
	v_fma_f32 v94, -0.5, v99, v94
	ds_load_2addr_b64 v[98:101], v134 offset0:72 offset1:172
	ds_load_2addr_b64 v[102:105], v128 offset0:144 offset1:244
	;; [unrolled: 1-line block ×4, first 2 shown]
	s_waitcnt lgkmcnt(0)
	s_waitcnt_vscnt null, 0x0
	s_barrier
	buffer_gl0_inv
	v_fmamk_f32 v116, v118, 0x3f5db3d7, v94
	v_fmac_f32_e32 v94, 0xbf5db3d7, v118
	v_add_f32_e32 v6, v96, v78
	scratch_store_b32 off, v5, off offset:260 ; 4-byte Folded Spill
	ds_store_2addr_b64 v4, v[114:115], v[116:117] offset1:10
	ds_store_b64 v4, v[94:95] offset:160
	v_add_f32_e32 v4, v78, v85
	v_add_f32_e32 v114, v81, v88
	;; [unrolled: 1-line block ×3, first 2 shown]
	v_sub_f32_e32 v6, v78, v85
	v_sub_f32_e32 v78, v89, v93
	v_fma_f32 v96, -0.5, v4, v96
	v_add_f32_e32 v4, v97, v81
	v_sub_f32_e32 v81, v81, v88
	v_fmac_f32_e32 v97, -0.5, v114
	s_delay_alu instid0(VALU_DEP_3) | instskip(NEXT) | instid1(VALU_DEP_3)
	v_add_f32_e32 v95, v4, v88
	v_fmamk_f32 v3, v81, 0x3f5db3d7, v96
	s_delay_alu instid0(VALU_DEP_3)
	v_fmamk_f32 v4, v6, 0xbf5db3d7, v97
	v_fmac_f32_e32 v96, 0xbf5db3d7, v81
	v_dual_fmac_f32 v97, 0x3f5db3d7, v6 :: v_dual_add_f32 v6, v89, v93
	v_sub_f32_e32 v81, v84, v92
	ds_store_2addr_b64 v5, v[94:95], v[3:4] offset1:10
	v_add_f32_e32 v3, v99, v89
	ds_store_b64 v5, v[96:97] offset:160
	v_add_f32_e32 v5, v84, v92
	v_fma_f32 v6, -0.5, v6, v99
	v_lshrrev_b16 v96, 12, v1
	v_dual_add_f32 v4, v3, v93 :: v_dual_add_f32 v3, v98, v84
	s_delay_alu instid0(VALU_DEP_4) | instskip(SKIP_2) | instid1(VALU_DEP_4)
	v_fma_f32 v5, -0.5, v5, v98
	v_and_b32_e32 v84, 0xffff, v74
	v_fmamk_f32 v75, v81, 0xbf5db3d7, v6
	v_dual_fmac_f32 v6, 0x3f5db3d7, v81 :: v_dual_add_f32 v3, v3, v92
	s_delay_alu instid0(VALU_DEP_4) | instskip(NEXT) | instid1(VALU_DEP_4)
	v_fmamk_f32 v74, v78, 0x3f5db3d7, v5
	v_dual_fmac_f32 v5, 0xbf5db3d7, v78 :: v_dual_lshlrev_b32 v14, 3, v84
	v_mul_lo_u16 v1, v96, 30
	ds_store_2addr_b64 v14, v[3:4], v[74:75] offset1:10
	ds_store_b64 v14, v[5:6] offset:160
	v_add_f32_e32 v3, v64, v71
	v_mad_u16 v6, v60, 30, v61
	v_add_f32_e32 v60, v68, v72
	v_add_f32_e32 v5, v100, v64
	v_sub_f32_e32 v61, v68, v72
	v_fma_f32 v100, -0.5, v3, v100
	v_add_f32_e32 v3, v101, v68
	v_dual_fmac_f32 v101, -0.5, v60 :: v_dual_sub_f32 v60, v64, v71
	v_and_b32_e32 v64, 0xffff, v6
	v_sub_nc_u16 v0, v0, v1
	s_delay_alu instid0(VALU_DEP_4)
	v_dual_add_f32 v4, v3, v72 :: v_dual_add_f32 v3, v5, v71
	v_fmamk_f32 v5, v61, 0x3f5db3d7, v100
	v_fmamk_f32 v6, v60, 0xbf5db3d7, v101
	v_fmac_f32_e32 v101, 0x3f5db3d7, v60
	v_mad_u16 v60, v65, 30, v66
	v_sub_f32_e32 v65, v77, v86
	scratch_store_b32 off, v14, off offset:268 ; 4-byte Folded Spill
	v_lshlrev_b32_e32 v14, 3, v64
	v_fmac_f32_e32 v100, 0xbf5db3d7, v61
	v_sub_f32_e32 v64, v82, v90
	v_and_b32_e32 v66, 0xffff, v60
	v_lshrrev_b16 v72, 12, v2
	ds_store_2addr_b64 v14, v[3:4], v[5:6] offset1:10
	v_add_f32_e32 v3, v103, v82
	v_add_f32_e32 v6, v82, v90
	v_add_f32_e32 v5, v77, v86
	scratch_store_b32 off, v14, off offset:248 ; 4-byte Folded Spill
	ds_store_b64 v14, v[100:101] offset:160
	v_dual_add_f32 v4, v3, v90 :: v_dual_add_f32 v3, v102, v77
	v_fma_f32 v5, -0.5, v5, v102
	v_fma_f32 v6, -0.5, v6, v103
	v_lshlrev_b32_e32 v14, 3, v66
	v_mul_lo_u16 v2, v72, 30
	s_delay_alu instid0(VALU_DEP_4) | instskip(NEXT) | instid1(VALU_DEP_4)
	v_dual_add_f32 v3, v3, v86 :: v_dual_fmamk_f32 v60, v64, 0x3f5db3d7, v5
	v_fmamk_f32 v61, v65, 0xbf5db3d7, v6
	v_fmac_f32_e32 v5, 0xbf5db3d7, v64
	v_fmac_f32_e32 v6, 0x3f5db3d7, v65
	scratch_store_b32 off, v14, off offset:244 ; 4-byte Folded Spill
	v_sub_nc_u16 v2, v44, v2
	ds_store_2addr_b64 v14, v[3:4], v[60:61] offset1:10
	v_add_f32_e32 v3, v70, v76
	ds_store_b64 v14, v[5:6] offset:160
	v_mad_u16 v6, v62, 30, v63
	v_sub_f32_e32 v63, v80, v87
	v_dual_add_f32 v60, v73, v79 :: v_dual_add_f32 v5, v104, v70
	v_fma_f32 v104, -0.5, v3, v104
	v_add_f32_e32 v3, v105, v73
	v_sub_f32_e32 v61, v73, v79
	s_delay_alu instid0(VALU_DEP_4) | instskip(SKIP_4) | instid1(VALU_DEP_4)
	v_fmac_f32_e32 v105, -0.5, v60
	v_sub_f32_e32 v60, v70, v76
	v_and_b32_e32 v62, 0xffff, v6
	v_and_b32_e32 v73, 0xff, v2
	;; [unrolled: 1-line block ×3, first 2 shown]
	v_fmamk_f32 v6, v60, 0xbf5db3d7, v105
	s_delay_alu instid0(VALU_DEP_4)
	v_lshlrev_b32_e32 v14, 3, v62
	v_sub_f32_e32 v62, v83, v91
	v_dual_add_f32 v4, v3, v79 :: v_dual_add_f32 v3, v5, v76
	v_fmamk_f32 v5, v61, 0x3f5db3d7, v104
	v_fmac_f32_e32 v105, 0x3f5db3d7, v60
	v_mad_u16 v60, v67, 30, v69
	v_fmac_f32_e32 v104, 0xbf5db3d7, v61
	scratch_store_b32 off, v14, off offset:252 ; 4-byte Folded Spill
	ds_store_2addr_b64 v14, v[3:4], v[5:6] offset1:10
	v_add_f32_e32 v3, v107, v83
	v_add_f32_e32 v6, v83, v91
	v_dual_add_f32 v5, v80, v87 :: v_dual_and_b32 v64, 0xffff, v60
	ds_store_b64 v14, v[104:105] offset:160
	v_dual_add_f32 v4, v3, v91 :: v_dual_add_f32 v3, v106, v80
	v_fma_f32 v5, -0.5, v5, v106
	v_fma_f32 v6, -0.5, v6, v107
	s_delay_alu instid0(VALU_DEP_3) | instskip(NEXT) | instid1(VALU_DEP_3)
	v_dual_add_f32 v3, v3, v87 :: v_dual_lshlrev_b32 v14, 3, v64
	v_fmamk_f32 v60, v62, 0x3f5db3d7, v5
	s_delay_alu instid0(VALU_DEP_3)
	v_fmamk_f32 v61, v63, 0xbf5db3d7, v6
	v_fmac_f32_e32 v5, 0xbf5db3d7, v62
	v_fmac_f32_e32 v6, 0x3f5db3d7, v63
	ds_store_2addr_b64 v14, v[3:4], v[60:61] offset1:10
	v_add_f32_e32 v3, v56, v58
	ds_store_b64 v14, v[5:6] offset:160
	v_mad_u16 v6, v51, 30, v54
	v_add_f32_e32 v51, v57, v59
	v_add_f32_e32 v5, v108, v56
	v_fma_f32 v108, -0.5, v3, v108
	v_add_f32_e32 v3, v109, v57
	v_sub_f32_e32 v54, v57, v59
	v_fmac_f32_e32 v109, -0.5, v51
	v_sub_f32_e32 v51, v56, v58
	v_and_b32_e32 v56, 0xffff, v6
	v_dual_add_f32 v4, v3, v59 :: v_dual_add_f32 v3, v5, v58
	v_fmamk_f32 v5, v54, 0x3f5db3d7, v108
	s_delay_alu instid0(VALU_DEP_4)
	v_fmamk_f32 v6, v51, 0xbf5db3d7, v109
	v_fmac_f32_e32 v109, 0x3f5db3d7, v51
	scratch_store_b32 off, v14, off offset:264 ; 4-byte Folded Spill
	v_lshlrev_b32_e32 v14, 3, v56
	ds_store_2addr_b64 v14, v[3:4], v[5:6] offset1:10
	v_add_f32_e32 v3, v111, v48
	v_dual_add_f32 v5, v46, v50 :: v_dual_add_f32 v6, v48, v55
	v_sub_f32_e32 v48, v48, v55
	scratch_store_b32 off, v14, off offset:284 ; 4-byte Folded Spill
	v_dual_add_f32 v4, v3, v55 :: v_dual_add_f32 v3, v110, v46
	v_fma_f32 v5, -0.5, v5, v110
	v_fma_f32 v6, -0.5, v6, v111
	v_sub_f32_e32 v46, v46, v50
	s_delay_alu instid0(VALU_DEP_4) | instskip(NEXT) | instid1(VALU_DEP_4)
	v_dual_add_f32 v3, v3, v50 :: v_dual_and_b32 v50, 0xffff, v9
	v_fmamk_f32 v9, v48, 0x3f5db3d7, v5
	v_fmac_f32_e32 v108, 0xbf5db3d7, v54
	s_delay_alu instid0(VALU_DEP_4)
	v_dual_fmamk_f32 v10, v46, 0xbf5db3d7, v6 :: v_dual_fmac_f32 v5, 0xbf5db3d7, v48
	v_fmac_f32_e32 v6, 0x3f5db3d7, v46
	ds_store_b64 v14, v[108:109] offset:160
	v_lshlrev_b32_e32 v14, 3, v50
	ds_store_2addr_b64 v14, v[3:4], v[9:10] offset1:10
	ds_store_b64 v14, v[5:6] offset:160
	v_add_f32_e32 v3, v11, v47
	v_mad_u16 v6, v7, 30, v8
	v_add_f32_e32 v7, v45, v49
	v_dual_add_f32 v5, v112, v11 :: v_dual_sub_f32 v8, v45, v49
	s_delay_alu instid0(VALU_DEP_4) | instskip(SKIP_1) | instid1(VALU_DEP_4)
	v_fma_f32 v112, -0.5, v3, v112
	v_add_f32_e32 v3, v113, v45
	v_fmac_f32_e32 v113, -0.5, v7
	v_sub_f32_e32 v7, v11, v47
	s_delay_alu instid0(VALU_DEP_3) | instskip(SKIP_2) | instid1(VALU_DEP_3)
	v_dual_add_f32 v4, v3, v49 :: v_dual_and_b32 v9, 0xffff, v6
	v_add_f32_e32 v3, v5, v47
	v_fmamk_f32 v5, v8, 0x3f5db3d7, v112
	v_dual_fmamk_f32 v6, v7, 0xbf5db3d7, v113 :: v_dual_lshlrev_b32 v9, 3, v9
	v_fmac_f32_e32 v112, 0xbf5db3d7, v8
	v_fmac_f32_e32 v113, 0x3f5db3d7, v7
	s_clause 0x1
	scratch_store_b32 off, v14, off offset:288
	scratch_store_b32 off, v9, off offset:280
	ds_store_2addr_b64 v9, v[3:4], v[5:6] offset1:10
	v_mad_u64_u32 v[4:5], null, 0x48, v73, s[10:11]
	ds_store_b64 v9, v[112:113] offset:160
	s_waitcnt lgkmcnt(0)
	s_waitcnt_vscnt null, 0x0
	s_barrier
	buffer_gl0_inv
	ds_load_2addr_b64 v[0:3], v130 offset0:88 offset1:188
	s_clause 0x1
	global_load_b128 v[237:240], v[4:5], off offset:160
	global_load_b128 v[44:47], v[4:5], off offset:176
	s_waitcnt vmcnt(1) lgkmcnt(0)
	v_mul_f32_e32 v6, v1, v240
	v_mul_f32_e32 v137, v0, v240
	s_delay_alu instid0(VALU_DEP_2)
	v_fma_f32 v138, v0, v239, -v6
	v_mad_u64_u32 v[6:7], null, 0x48, v97, s[10:11]
	s_clause 0x1
	global_load_b64 v[235:236], v[4:5], off offset:224
	global_load_b128 v[48:51], v[6:7], off offset:160
	v_fmac_f32_e32 v137, v1, v239
	s_waitcnt vmcnt(0)
	v_mul_f32_e32 v0, v3, v51
	v_mul_f32_e32 v120, v2, v51
	s_delay_alu instid0(VALU_DEP_2) | instskip(NEXT) | instid1(VALU_DEP_2)
	v_fma_f32 v118, v2, v50, -v0
	v_fmac_f32_e32 v120, v3, v50
	ds_load_2addr_b64 v[0:3], v251 offset0:48 offset1:148
	s_clause 0x3
	global_load_b128 v[56:59], v[6:7], off offset:176
	global_load_b128 v[64:67], v[6:7], off offset:192
	;; [unrolled: 1-line block ×4, first 2 shown]
	s_waitcnt lgkmcnt(0)
	v_mul_f32_e32 v8, v1, v47
	s_delay_alu instid0(VALU_DEP_1) | instskip(SKIP_1) | instid1(VALU_DEP_1)
	v_fma_f32 v9, v0, v46, -v8
	v_mul_f32_e32 v8, v0, v47
	v_fmac_f32_e32 v8, v1, v46
	s_waitcnt vmcnt(3)
	v_mul_f32_e32 v0, v3, v59
	v_mul_f32_e32 v122, v2, v59
	s_delay_alu instid0(VALU_DEP_2) | instskip(NEXT) | instid1(VALU_DEP_2)
	v_fma_f32 v119, v2, v58, -v0
	v_fmac_f32_e32 v122, v3, v58
	ds_load_2addr_b64 v[0:3], v143 offset0:8 offset1:108
	s_waitcnt vmcnt(1) lgkmcnt(0)
	v_mul_f32_e32 v4, v1, v63
	v_mul_f32_e32 v141, v0, v63
	;; [unrolled: 1-line block ×3, first 2 shown]
	v_mov_b32_e32 v14, v130
	s_delay_alu instid0(VALU_DEP_4) | instskip(NEXT) | instid1(VALU_DEP_4)
	v_fma_f32 v144, v0, v62, -v4
	v_dual_fmac_f32 v141, v1, v62 :: v_dual_mul_f32 v0, v3, v67
	s_delay_alu instid0(VALU_DEP_4) | instskip(NEXT) | instid1(VALU_DEP_2)
	v_fmac_f32_e32 v123, v3, v66
	v_fma_f32 v121, v2, v66, -v0
	ds_load_2addr_b64 v[0:3], v132 offset0:96 offset1:196
	s_clause 0x1
	global_load_b64 v[215:216], v[6:7], off offset:224
	global_load_b128 v[84:87], v[6:7], off offset:208
	s_waitcnt vmcnt(2) lgkmcnt(0)
	v_mul_f32_e32 v4, v1, v79
	v_mul_f32_e32 v145, v0, v79
	s_delay_alu instid0(VALU_DEP_2) | instskip(NEXT) | instid1(VALU_DEP_2)
	v_fma_f32 v146, v0, v78, -v4
	v_fmac_f32_e32 v145, v1, v78
	s_delay_alu instid0(VALU_DEP_2) | instskip(SKIP_3) | instid1(VALU_DEP_2)
	v_sub_f32_e32 v166, v138, v146
	s_waitcnt vmcnt(0)
	v_mul_f32_e32 v0, v3, v87
	v_dual_mul_f32 v127, v2, v87 :: v_dual_add_f32 v160, v8, v141
	v_fma_f32 v124, v2, v86, -v0
	v_mul_u32_u24_e32 v0, 0x8889, v53
	s_delay_alu instid0(VALU_DEP_3) | instskip(NEXT) | instid1(VALU_DEP_2)
	v_fmac_f32_e32 v127, v3, v86
	v_lshrrev_b32_e32 v106, 20, v0
	s_delay_alu instid0(VALU_DEP_1) | instskip(NEXT) | instid1(VALU_DEP_1)
	v_mul_lo_u16 v0, v106, 30
	v_sub_nc_u16 v107, v52, v0
	s_delay_alu instid0(VALU_DEP_1) | instskip(NEXT) | instid1(VALU_DEP_1)
	v_mul_lo_u16 v0, 0x48, v107
	v_and_b32_e32 v0, 0xffff, v0
	s_delay_alu instid0(VALU_DEP_1) | instskip(NEXT) | instid1(VALU_DEP_1)
	v_add_co_u32 v4, s2, s10, v0
	v_add_co_ci_u32_e64 v5, null, s11, 0, s2
	ds_load_2addr_b64 v[0:3], v128 offset0:144 offset1:244
	s_clause 0x1
	global_load_b128 v[68:71], v[4:5], off offset:160
	global_load_b128 v[80:83], v[4:5], off offset:176
	s_mul_i32 s2, s5, 0x960
	s_delay_alu instid0(SALU_CYCLE_1) | instskip(SKIP_4) | instid1(VALU_DEP_2)
	s_add_i32 s2, s3, s2
	s_mul_i32 s3, s4, 0x960
	s_waitcnt lgkmcnt(0)
	v_mul_f32_e32 v6, v1, v49
	v_mul_f32_e32 v126, v0, v49
	v_fma_f32 v125, v0, v48, -v6
	s_delay_alu instid0(VALU_DEP_2) | instskip(SKIP_3) | instid1(VALU_DEP_2)
	v_fmac_f32_e32 v126, v1, v48
	s_waitcnt vmcnt(1)
	v_mul_f32_e32 v0, v3, v69
	v_mul_f32_e32 v99, v2, v69
	v_fma_f32 v98, v2, v68, -v0
	s_delay_alu instid0(VALU_DEP_2)
	v_fmac_f32_e32 v99, v3, v68
	ds_load_2addr_b64 v[0:3], v133 offset0:32 offset1:132
	s_waitcnt lgkmcnt(0)
	v_mul_f32_e32 v6, v3, v45
	v_mul_f32_e32 v147, v2, v45
	;; [unrolled: 1-line block ×3, first 2 shown]
	s_delay_alu instid0(VALU_DEP_3) | instskip(NEXT) | instid1(VALU_DEP_3)
	v_fma_f32 v150, v2, v44, -v6
	v_dual_mul_f32 v2, v1, v71 :: v_dual_fmac_f32 v147, v3, v44
	s_delay_alu instid0(VALU_DEP_3) | instskip(NEXT) | instid1(VALU_DEP_2)
	v_fmac_f32_e32 v101, v1, v70
	v_fma_f32 v100, v0, v70, -v2
	ds_load_2addr_b64 v[0:3], v142 offset0:104 offset1:204
	s_waitcnt lgkmcnt(0)
	v_mul_f32_e32 v6, v1, v57
	v_mul_f32_e32 v128, v0, v57
	s_waitcnt vmcnt(0)
	v_mul_f32_e32 v102, v2, v81
	s_delay_alu instid0(VALU_DEP_3) | instskip(SKIP_2) | instid1(VALU_DEP_4)
	v_fma_f32 v129, v0, v56, -v6
	v_mul_f32_e32 v0, v3, v81
	v_fmac_f32_e32 v128, v1, v56
	v_fmac_f32_e32 v102, v3, v80
	s_delay_alu instid0(VALU_DEP_3) | instskip(SKIP_4) | instid1(VALU_DEP_2)
	v_fma_f32 v104, v2, v80, -v0
	ds_load_2addr_b64 v[0:3], v250 offset0:120 offset1:220
	s_waitcnt lgkmcnt(0)
	v_dual_mov_b32 v16, v132 :: v_dual_mul_f32 v151, v2, v61
	v_dual_mul_f32 v6, v3, v61 :: v_dual_mul_f32 v105, v0, v83
	v_fmac_f32_e32 v151, v3, v60
	s_delay_alu instid0(VALU_DEP_2) | instskip(SKIP_1) | instid1(VALU_DEP_4)
	v_fma_f32 v152, v2, v60, -v6
	v_mul_f32_e32 v2, v1, v83
	v_fmac_f32_e32 v105, v1, v82
	s_delay_alu instid0(VALU_DEP_2)
	v_fma_f32 v103, v0, v82, -v2
	ds_load_2addr_b64 v[0:3], v217 offset0:64 offset1:164
	s_clause 0x2
	global_load_b128 v[88:91], v[4:5], off offset:192
	global_load_b128 v[92:95], v[4:5], off offset:208
	global_load_b64 v[197:198], v[4:5], off offset:224
	ds_load_2addr_b64 v[52:55], v15 offset0:72 offset1:172
	s_waitcnt lgkmcnt(1)
	v_mul_f32_e32 v6, v1, v65
	v_mul_f32_e32 v130, v0, v65
	s_delay_alu instid0(VALU_DEP_2) | instskip(NEXT) | instid1(VALU_DEP_2)
	v_fma_f32 v131, v0, v64, -v6
	v_fmac_f32_e32 v130, v1, v64
	s_waitcnt vmcnt(2)
	v_mul_f32_e32 v0, v3, v89
	v_mul_f32_e32 v109, v2, v89
	s_delay_alu instid0(VALU_DEP_2) | instskip(NEXT) | instid1(VALU_DEP_2)
	v_fma_f32 v110, v2, v88, -v0
	v_fmac_f32_e32 v109, v3, v88
	ds_load_2addr_b64 v[0:3], v136 offset0:80 offset1:180
	s_waitcnt lgkmcnt(0)
	v_dual_mov_b32 v18, v133 :: v_dual_mul_f32 v153, v2, v77
	v_dual_mul_f32 v6, v3, v77 :: v_dual_mul_f32 v111, v0, v91
	s_delay_alu instid0(VALU_DEP_2) | instskip(NEXT) | instid1(VALU_DEP_2)
	v_fmac_f32_e32 v153, v3, v76
	v_fma_f32 v154, v2, v76, -v6
	v_mul_f32_e32 v2, v1, v91
	s_delay_alu instid0(VALU_DEP_4) | instskip(NEXT) | instid1(VALU_DEP_4)
	v_fmac_f32_e32 v111, v1, v90
	v_dual_mul_f32 v158, v54, v238 :: v_dual_sub_f32 v5, v151, v153
	v_sub_f32_e32 v168, v9, v144
	s_delay_alu instid0(VALU_DEP_4) | instskip(SKIP_4) | instid1(VALU_DEP_1)
	v_fma_f32 v108, v0, v90, -v2
	ds_load_2addr_b64 v[0:3], v195 offset0:152 offset1:252
	v_sub_f32_e32 v162, v137, v145
	v_sub_f32_e32 v164, v8, v141
	v_fmac_f32_e32 v158, v55, v237
	v_add_f32_e32 v159, v158, v147
	s_delay_alu instid0(VALU_DEP_1) | instskip(NEXT) | instid1(VALU_DEP_1)
	v_add_f32_e32 v159, v159, v151
	v_add_f32_e32 v159, v159, v153
	s_waitcnt lgkmcnt(0)
	v_mul_f32_e32 v6, v1, v85
	v_mul_f32_e32 v132, v0, v85
	s_waitcnt vmcnt(1)
	v_mul_f32_e32 v112, v2, v93
	s_delay_alu instid0(VALU_DEP_3) | instskip(NEXT) | instid1(VALU_DEP_3)
	v_fma_f32 v133, v0, v84, -v6
	v_fmac_f32_e32 v132, v1, v84
	v_mul_f32_e32 v0, v3, v93
	s_delay_alu instid0(VALU_DEP_4) | instskip(NEXT) | instid1(VALU_DEP_2)
	v_fmac_f32_e32 v112, v3, v92
	v_fma_f32 v114, v2, v92, -v0
	ds_load_2addr_b64 v[0:3], v13 offset0:40 offset1:140
	s_waitcnt lgkmcnt(0)
	v_mul_f32_e32 v6, v3, v236
	v_mul_f32_e32 v155, v2, v236
	;; [unrolled: 1-line block ×3, first 2 shown]
	s_delay_alu instid0(VALU_DEP_3) | instskip(SKIP_1) | instid1(VALU_DEP_4)
	v_fma_f32 v156, v2, v235, -v6
	v_mul_f32_e32 v2, v1, v95
	v_fmac_f32_e32 v155, v3, v235
	s_delay_alu instid0(VALU_DEP_4) | instskip(NEXT) | instid1(VALU_DEP_3)
	v_fmac_f32_e32 v115, v1, v94
	v_fma_f32 v113, v0, v94, -v2
	ds_load_2addr_b64 v[0:3], v189 offset0:112 offset1:212
	s_waitcnt lgkmcnt(0)
	v_dual_add_f32 v171, v159, v155 :: v_dual_mul_f32 v4, v1, v216
	v_mul_f32_e32 v134, v0, v216
	s_waitcnt vmcnt(0)
	v_mul_f32_e32 v116, v2, v198
	s_delay_alu instid0(VALU_DEP_3) | instskip(SKIP_4) | instid1(VALU_DEP_4)
	v_fma_f32 v135, v0, v215, -v4
	v_mul_f32_e32 v0, v3, v198
	v_dual_fmac_f32 v134, v1, v215 :: v_dual_sub_f32 v1, v146, v144
	v_sub_f32_e32 v4, v150, v156
	v_fmac_f32_e32 v116, v3, v197
	v_fma_f32 v117, v2, v197, -v0
	v_sub_f32_e32 v0, v138, v9
	v_dual_add_f32 v2, v151, v153 :: v_dual_sub_f32 v3, v152, v154
	s_delay_alu instid0(VALU_DEP_2) | instskip(SKIP_2) | instid1(VALU_DEP_4)
	v_add_f32_e32 v136, v0, v1
	v_sub_f32_e32 v0, v137, v8
	v_sub_f32_e32 v1, v145, v141
	v_fma_f32 v2, -0.5, v2, v158
	s_delay_alu instid0(VALU_DEP_2) | instskip(SKIP_1) | instid1(VALU_DEP_3)
	v_dual_add_f32 v139, v0, v1 :: v_dual_sub_f32 v0, v150, v152
	v_sub_f32_e32 v1, v156, v154
	v_fmamk_f32 v10, v4, 0xbf737871, v2
	s_delay_alu instid0(VALU_DEP_2) | instskip(SKIP_1) | instid1(VALU_DEP_3)
	v_add_f32_e32 v140, v0, v1
	v_sub_f32_e32 v0, v147, v151
	v_dual_sub_f32 v1, v155, v153 :: v_dual_fmac_f32 v10, 0xbf167918, v3
	s_delay_alu instid0(VALU_DEP_1) | instskip(NEXT) | instid1(VALU_DEP_1)
	v_dual_add_f32 v0, v0, v1 :: v_dual_mul_f32 v1, v55, v238
	v_fmac_f32_e32 v10, 0x3e9e377a, v0
	s_delay_alu instid0(VALU_DEP_2) | instskip(SKIP_1) | instid1(VALU_DEP_3)
	v_fma_f32 v157, v54, v237, -v1
	v_dual_add_f32 v1, v152, v154 :: v_dual_sub_f32 v6, v147, v155
	v_mul_f32_e32 v54, 0x3f167918, v10
	s_delay_alu instid0(VALU_DEP_3) | instskip(NEXT) | instid1(VALU_DEP_3)
	v_add_f32_e32 v11, v157, v150
	v_fma_f32 v1, -0.5, v1, v157
	s_delay_alu instid0(VALU_DEP_2) | instskip(NEXT) | instid1(VALU_DEP_2)
	v_add_f32_e32 v11, v11, v152
	v_fmamk_f32 v7, v6, 0x3f737871, v1
	s_delay_alu instid0(VALU_DEP_2) | instskip(NEXT) | instid1(VALU_DEP_1)
	v_add_f32_e32 v11, v11, v154
	v_dual_fmac_f32 v7, 0x3f167918, v5 :: v_dual_add_f32 v170, v11, v156
	s_delay_alu instid0(VALU_DEP_1) | instskip(NEXT) | instid1(VALU_DEP_1)
	v_fmac_f32_e32 v7, 0x3e9e377a, v140
	v_fmac_f32_e32 v54, 0x3f4f1bbd, v7
	v_mul_f32_e32 v7, 0xbf167918, v7
	s_delay_alu instid0(VALU_DEP_1) | instskip(SKIP_1) | instid1(VALU_DEP_1)
	v_fmac_f32_e32 v7, 0x3f4f1bbd, v10
	v_and_b32_e32 v10, 0xffff, v72
	v_mul_u32_u24_e32 v10, 0x12c, v10
	s_delay_alu instid0(VALU_DEP_1)
	v_add_lshl_u32 v22, v10, v73, 3
	ds_load_2addr_b64 v[72:75], v247 offset1:100
	s_waitcnt lgkmcnt(0)
	s_barrier
	buffer_gl0_inv
	v_add_f32_e32 v10, v72, v138
	v_fma_f32 v165, -0.5, v160, v73
	s_delay_alu instid0(VALU_DEP_2) | instskip(NEXT) | instid1(VALU_DEP_2)
	v_add_f32_e32 v10, v10, v9
	v_fmamk_f32 v167, v166, 0xbf737871, v165
	s_delay_alu instid0(VALU_DEP_2) | instskip(NEXT) | instid1(VALU_DEP_2)
	v_add_f32_e32 v10, v10, v144
	v_fmac_f32_e32 v167, 0xbf167918, v168
	s_delay_alu instid0(VALU_DEP_2) | instskip(NEXT) | instid1(VALU_DEP_2)
	v_dual_add_f32 v55, v10, v146 :: v_dual_add_f32 v10, v9, v144
	v_fmac_f32_e32 v167, 0x3e9e377a, v139
	v_sub_f32_e32 v9, v9, v138
	s_delay_alu instid0(VALU_DEP_3) | instskip(SKIP_1) | instid1(VALU_DEP_2)
	v_fma_f32 v161, -0.5, v10, v72
	v_add_f32_e32 v10, v73, v137
	v_dual_add_f32 v160, v167, v7 :: v_dual_fmamk_f32 v163, v162, 0x3f737871, v161
	s_delay_alu instid0(VALU_DEP_2) | instskip(NEXT) | instid1(VALU_DEP_2)
	v_add_f32_e32 v10, v10, v8
	v_dual_sub_f32 v8, v8, v137 :: v_dual_fmac_f32 v163, 0x3f167918, v164
	s_delay_alu instid0(VALU_DEP_1) | instskip(NEXT) | instid1(VALU_DEP_1)
	v_dual_add_f32 v10, v10, v141 :: v_dual_fmac_f32 v163, 0x3e9e377a, v136
	v_dual_add_f32 v169, v10, v145 :: v_dual_add_f32 v10, v55, v170
	s_delay_alu instid0(VALU_DEP_2) | instskip(NEXT) | instid1(VALU_DEP_2)
	v_add_f32_e32 v159, v163, v54
	v_dual_add_f32 v11, v169, v171 :: v_dual_fmac_f32 v2, 0x3f737871, v4
	ds_store_2addr_b64 v22, v[10:11], v[159:160] offset1:30
	v_sub_f32_e32 v10, v144, v146
	v_dual_add_f32 v11, v138, v146 :: v_dual_add_f32 v146, v147, v155
	v_sub_f32_e32 v138, v152, v150
	s_delay_alu instid0(VALU_DEP_3) | instskip(SKIP_4) | instid1(VALU_DEP_3)
	v_dual_sub_f32 v144, v154, v156 :: v_dual_add_f32 v9, v9, v10
	v_add_f32_e32 v10, v137, v145
	v_sub_f32_e32 v137, v141, v145
	v_dual_add_f32 v141, v150, v156 :: v_dual_fmac_f32 v2, 0x3f167918, v3
	v_sub_f32_e32 v145, v151, v147
	v_dual_sub_f32 v147, v153, v155 :: v_dual_add_f32 v8, v8, v137
	s_delay_alu instid0(VALU_DEP_3) | instskip(SKIP_3) | instid1(VALU_DEP_4)
	v_fmac_f32_e32 v157, -0.5, v141
	v_fmac_f32_e32 v1, 0xbf737871, v6
	v_dual_fmac_f32 v158, -0.5, v146 :: v_dual_add_f32 v137, v138, v144
	v_fmac_f32_e32 v2, 0x3e9e377a, v0
	v_fmamk_f32 v144, v5, 0xbf737871, v157
	s_delay_alu instid0(VALU_DEP_4) | instskip(NEXT) | instid1(VALU_DEP_4)
	v_fmac_f32_e32 v1, 0xbf167918, v5
	v_fmamk_f32 v141, v3, 0x3f737871, v158
	v_fmac_f32_e32 v158, 0xbf737871, v3
	v_dual_fmac_f32 v157, 0x3f737871, v5 :: v_dual_add_f32 v138, v145, v147
	s_delay_alu instid0(VALU_DEP_4) | instskip(NEXT) | instid1(VALU_DEP_4)
	v_fmac_f32_e32 v1, 0x3e9e377a, v140
	v_fmac_f32_e32 v141, 0xbf167918, v4
	s_delay_alu instid0(VALU_DEP_4)
	v_fmac_f32_e32 v158, 0x3f167918, v4
	v_mul_f32_e32 v5, 0xbf4f1bbd, v2
	v_fma_f32 v72, -0.5, v11, v72
	v_mul_f32_e32 v4, 0xbf4f1bbd, v1
	v_fmac_f32_e32 v141, 0x3e9e377a, v138
	v_fma_f32 v73, -0.5, v10, v73
	v_fmac_f32_e32 v157, 0xbf167918, v6
	s_delay_alu instid0(VALU_DEP_4)
	v_fmac_f32_e32 v4, 0x3f167918, v2
	v_fmac_f32_e32 v5, 0xbf167918, v1
	;; [unrolled: 1-line block ×3, first 2 shown]
	v_dual_mul_f32 v145, 0x3f737871, v141 :: v_dual_fmamk_f32 v146, v168, 0x3f737871, v73
	v_fmac_f32_e32 v73, 0xbf737871, v168
	v_fmac_f32_e32 v161, 0xbf737871, v162
	s_delay_alu instid0(VALU_DEP_4) | instskip(SKIP_1) | instid1(VALU_DEP_2)
	v_fmac_f32_e32 v144, 0x3e9e377a, v137
	v_fmac_f32_e32 v157, 0x3e9e377a, v137
	;; [unrolled: 1-line block ×3, first 2 shown]
	v_mul_f32_e32 v144, 0xbf737871, v144
	s_delay_alu instid0(VALU_DEP_3) | instskip(NEXT) | instid1(VALU_DEP_2)
	v_mul_f32_e32 v137, 0xbe9e377a, v157
	v_fmac_f32_e32 v144, 0x3e9e377a, v141
	v_fmamk_f32 v141, v164, 0xbf737871, v72
	s_delay_alu instid0(VALU_DEP_1) | instskip(SKIP_1) | instid1(VALU_DEP_2)
	v_fmac_f32_e32 v141, 0x3f167918, v162
	v_fmac_f32_e32 v161, 0xbf167918, v164
	;; [unrolled: 1-line block ×4, first 2 shown]
	s_delay_alu instid0(VALU_DEP_3) | instskip(SKIP_1) | instid1(VALU_DEP_4)
	v_fmac_f32_e32 v161, 0x3e9e377a, v136
	v_fmac_f32_e32 v146, 0xbf167918, v166
	v_dual_fmac_f32 v73, 0x3f167918, v166 :: v_dual_sub_f32 v2, v141, v145
	s_delay_alu instid0(VALU_DEP_4)
	v_fmac_f32_e32 v165, 0x3f167918, v168
	v_fmac_f32_e32 v158, 0x3e9e377a, v138
	v_add_f32_e32 v0, v161, v4
	v_fmac_f32_e32 v146, 0x3e9e377a, v8
	v_fmac_f32_e32 v73, 0x3e9e377a, v8
	;; [unrolled: 1-line block ×4, first 2 shown]
	v_mul_f32_e32 v138, 0xbe9e377a, v158
	v_fmac_f32_e32 v137, 0x3f737871, v158
	v_dual_sub_f32 v3, v146, v144 :: v_dual_add_f32 v8, v141, v145
	s_delay_alu instid0(VALU_DEP_4) | instskip(NEXT) | instid1(VALU_DEP_4)
	v_fmac_f32_e32 v72, 0xbf167918, v162
	v_fmac_f32_e32 v138, 0xbf737871, v157
	v_add_f32_e32 v1, v165, v5
	v_dual_sub_f32 v141, v119, v121 :: v_dual_sub_f32 v140, v118, v124
	s_delay_alu instid0(VALU_DEP_4) | instskip(NEXT) | instid1(VALU_DEP_1)
	v_dual_fmac_f32 v72, 0x3e9e377a, v9 :: v_dual_add_f32 v9, v146, v144
	v_dual_add_f32 v11, v73, v138 :: v_dual_add_f32 v10, v72, v137
	ds_store_2addr_b64 v22, v[8:9], v[10:11] offset0:60 offset1:90
	v_dual_sub_f32 v8, v55, v170 :: v_dual_sub_f32 v9, v169, v171
	v_sub_f32_e32 v55, v130, v132
	v_sub_f32_e32 v11, v131, v133
	ds_store_2addr_b64 v22, v[0:1], v[8:9] offset0:120 offset1:150
	v_sub_f32_e32 v0, v163, v54
	v_dual_sub_f32 v1, v167, v7 :: v_dual_sub_f32 v54, v128, v134
	ds_store_2addr_b64 v22, v[0:1], v[2:3] offset0:180 offset1:210
	v_dual_sub_f32 v0, v72, v137 :: v_dual_sub_f32 v1, v73, v138
	v_dual_sub_f32 v2, v161, v4 :: v_dual_sub_f32 v137, v120, v127
	v_dual_sub_f32 v3, v165, v5 :: v_dual_add_nc_u32 v4, 0x400, v22
	scratch_store_b32 off, v22, off offset:308 ; 4-byte Folded Spill
	v_sub_f32_e32 v138, v122, v123
	ds_store_2addr_b64 v4, v[0:1], v[2:3] offset0:112 offset1:142
	v_add_f32_e32 v3, v126, v128
	v_sub_f32_e32 v1, v124, v121
	scratch_store_b32 off, v4, off offset:296 ; 4-byte Folded Spill
	v_dual_add_f32 v2, v125, v129 :: v_dual_add_f32 v3, v3, v130
	v_sub_f32_e32 v0, v118, v119
	s_delay_alu instid0(VALU_DEP_2) | instskip(NEXT) | instid1(VALU_DEP_2)
	v_dual_add_f32 v2, v2, v131 :: v_dual_add_f32 v3, v3, v132
	v_add_f32_e32 v4, v0, v1
	v_dual_sub_f32 v0, v120, v122 :: v_dual_sub_f32 v1, v127, v123
	s_delay_alu instid0(VALU_DEP_3) | instskip(NEXT) | instid1(VALU_DEP_4)
	v_dual_sub_f32 v10, v129, v135 :: v_dual_add_f32 v147, v3, v134
	v_add_f32_e32 v2, v2, v133
	s_delay_alu instid0(VALU_DEP_3) | instskip(NEXT) | instid1(VALU_DEP_2)
	v_dual_add_f32 v5, v0, v1 :: v_dual_sub_f32 v0, v129, v131
	v_dual_sub_f32 v1, v135, v133 :: v_dual_add_f32 v146, v2, v135
	s_delay_alu instid0(VALU_DEP_1) | instskip(SKIP_1) | instid1(VALU_DEP_1)
	v_add_f32_e32 v6, v0, v1
	v_dual_sub_f32 v0, v128, v130 :: v_dual_sub_f32 v1, v134, v132
	v_add_f32_e32 v7, v0, v1
	v_add_f32_e32 v0, v131, v133
	s_delay_alu instid0(VALU_DEP_1) | instskip(SKIP_1) | instid1(VALU_DEP_2)
	v_fma_f32 v8, -0.5, v0, v125
	v_add_f32_e32 v0, v130, v132
	v_fmamk_f32 v1, v54, 0x3f737871, v8
	s_delay_alu instid0(VALU_DEP_2) | instskip(NEXT) | instid1(VALU_DEP_2)
	v_fma_f32 v9, -0.5, v0, v126
	v_fmac_f32_e32 v1, 0x3f167918, v55
	s_delay_alu instid0(VALU_DEP_2) | instskip(SKIP_1) | instid1(VALU_DEP_3)
	v_fmamk_f32 v0, v10, 0xbf737871, v9
	v_fmac_f32_e32 v9, 0x3f737871, v10
	v_fmac_f32_e32 v1, 0x3e9e377a, v6
	s_delay_alu instid0(VALU_DEP_3) | instskip(NEXT) | instid1(VALU_DEP_3)
	v_fmac_f32_e32 v0, 0xbf167918, v11
	v_fmac_f32_e32 v9, 0x3f167918, v11
	s_delay_alu instid0(VALU_DEP_3) | instskip(NEXT) | instid1(VALU_DEP_3)
	v_mul_f32_e32 v73, 0xbf167918, v1
	v_fmac_f32_e32 v0, 0x3e9e377a, v7
	s_delay_alu instid0(VALU_DEP_3) | instskip(NEXT) | instid1(VALU_DEP_2)
	v_fmac_f32_e32 v9, 0x3e9e377a, v7
	v_mul_f32_e32 v72, 0x3f167918, v0
	s_delay_alu instid0(VALU_DEP_4) | instskip(SKIP_1) | instid1(VALU_DEP_3)
	v_fmac_f32_e32 v73, 0x3f4f1bbd, v0
	v_and_b32_e32 v0, 0xffff, v96
	v_dual_fmac_f32 v72, 0x3f4f1bbd, v1 :: v_dual_add_f32 v1, v75, v120
	s_delay_alu instid0(VALU_DEP_2) | instskip(NEXT) | instid1(VALU_DEP_2)
	v_mul_u32_u24_e32 v0, 0x12c, v0
	v_add_f32_e32 v1, v1, v122
	s_delay_alu instid0(VALU_DEP_2) | instskip(SKIP_1) | instid1(VALU_DEP_3)
	v_add_lshl_u32 v22, v0, v97, 3
	v_dual_add_f32 v0, v122, v123 :: v_dual_add_f32 v97, v119, v121
	v_add_f32_e32 v1, v1, v123
	s_delay_alu instid0(VALU_DEP_2) | instskip(SKIP_1) | instid1(VALU_DEP_4)
	v_fma_f32 v96, -0.5, v0, v75
	v_add_f32_e32 v0, v74, v118
	v_fma_f32 v97, -0.5, v97, v74
	s_delay_alu instid0(VALU_DEP_3) | instskip(NEXT) | instid1(VALU_DEP_2)
	v_dual_add_f32 v145, v1, v127 :: v_dual_fmamk_f32 v144, v140, 0xbf737871, v96
	v_dual_add_f32 v0, v0, v119 :: v_dual_fmamk_f32 v139, v137, 0x3f737871, v97
	s_delay_alu instid0(VALU_DEP_2) | instskip(SKIP_1) | instid1(VALU_DEP_4)
	v_add_f32_e32 v1, v145, v147
	v_fmac_f32_e32 v97, 0xbf737871, v137
	v_fmac_f32_e32 v144, 0xbf167918, v141
	s_delay_alu instid0(VALU_DEP_4) | instskip(NEXT) | instid1(VALU_DEP_2)
	v_dual_add_f32 v0, v0, v121 :: v_dual_fmac_f32 v139, 0x3f167918, v138
	v_fmac_f32_e32 v144, 0x3e9e377a, v5
	s_delay_alu instid0(VALU_DEP_2) | instskip(NEXT) | instid1(VALU_DEP_3)
	v_add_f32_e32 v136, v0, v124
	v_fmac_f32_e32 v139, 0x3e9e377a, v4
	s_delay_alu instid0(VALU_DEP_3) | instskip(NEXT) | instid1(VALU_DEP_3)
	v_add_f32_e32 v3, v144, v73
	v_add_f32_e32 v0, v136, v146
	s_delay_alu instid0(VALU_DEP_3) | instskip(SKIP_4) | instid1(VALU_DEP_2)
	v_add_f32_e32 v2, v139, v72
	ds_store_2addr_b64 v22, v[0:1], v[2:3] offset1:30
	v_sub_f32_e32 v1, v123, v127
	v_add_f32_e32 v3, v129, v135
	v_add_f32_e32 v123, v128, v134
	v_fmac_f32_e32 v125, -0.5, v3
	s_delay_alu instid0(VALU_DEP_2) | instskip(SKIP_1) | instid1(VALU_DEP_1)
	v_dual_fmac_f32 v126, -0.5, v123 :: v_dual_sub_f32 v3, v119, v118
	v_sub_f32_e32 v119, v121, v124
	v_dual_add_f32 v118, v118, v124 :: v_dual_add_f32 v3, v3, v119
	s_delay_alu instid0(VALU_DEP_3) | instskip(NEXT) | instid1(VALU_DEP_2)
	v_fmamk_f32 v119, v11, 0x3f737871, v126
	v_fma_f32 v74, -0.5, v118, v74
	s_delay_alu instid0(VALU_DEP_2) | instskip(SKIP_1) | instid1(VALU_DEP_2)
	v_dual_fmac_f32 v119, 0xbf167918, v10 :: v_dual_add_f32 v0, v120, v127
	v_sub_f32_e32 v127, v132, v134
	v_fmac_f32_e32 v75, -0.5, v0
	v_sub_f32_e32 v0, v122, v120
	v_sub_f32_e32 v120, v133, v135
	;; [unrolled: 1-line block ×3, first 2 shown]
	v_fmac_f32_e32 v8, 0xbf737871, v54
	s_delay_alu instid0(VALU_DEP_4) | instskip(SKIP_2) | instid1(VALU_DEP_3)
	v_dual_fmamk_f32 v123, v141, 0x3f737871, v75 :: v_dual_add_f32 v0, v0, v1
	v_fmac_f32_e32 v96, 0x3f737871, v140
	v_fmac_f32_e32 v75, 0xbf737871, v141
	v_dual_fmac_f32 v8, 0xbf167918, v55 :: v_dual_fmac_f32 v123, 0xbf167918, v140
	v_sub_f32_e32 v2, v131, v129
	s_delay_alu instid0(VALU_DEP_3) | instskip(NEXT) | instid1(VALU_DEP_3)
	v_dual_fmac_f32 v96, 0x3f167918, v141 :: v_dual_fmac_f32 v75, 0x3f167918, v140
	v_dual_fmac_f32 v8, 0x3e9e377a, v6 :: v_dual_fmac_f32 v123, 0x3e9e377a, v0
	s_delay_alu instid0(VALU_DEP_3) | instskip(SKIP_1) | instid1(VALU_DEP_4)
	v_dual_add_f32 v1, v2, v120 :: v_dual_fmamk_f32 v120, v55, 0xbf737871, v125
	v_fmac_f32_e32 v125, 0x3f737871, v55
	v_dual_sub_f32 v55, v109, v112 :: v_dual_fmac_f32 v96, 0x3e9e377a, v5
	v_mul_f32_e32 v5, 0xbf4f1bbd, v9
	s_delay_alu instid0(VALU_DEP_4) | instskip(NEXT) | instid1(VALU_DEP_4)
	v_fmac_f32_e32 v120, 0x3f167918, v54
	v_dual_add_f32 v2, v122, v127 :: v_dual_fmac_f32 v125, 0xbf167918, v54
	v_sub_f32_e32 v54, v102, v116
	s_delay_alu instid0(VALU_DEP_4) | instskip(NEXT) | instid1(VALU_DEP_4)
	v_fmac_f32_e32 v5, 0xbf167918, v8
	v_fmac_f32_e32 v120, 0x3e9e377a, v1
	;; [unrolled: 1-line block ×4, first 2 shown]
	v_sub_f32_e32 v11, v110, v114
	s_delay_alu instid0(VALU_DEP_3) | instskip(NEXT) | instid1(VALU_DEP_3)
	v_fmac_f32_e32 v126, 0x3f167918, v10
	v_mul_f32_e32 v122, 0xbe9e377a, v125
	v_sub_f32_e32 v10, v104, v117
	s_delay_alu instid0(VALU_DEP_3) | instskip(NEXT) | instid1(VALU_DEP_1)
	v_fmac_f32_e32 v126, 0x3e9e377a, v2
	v_mul_f32_e32 v121, 0xbe9e377a, v126
	s_delay_alu instid0(VALU_DEP_4) | instskip(NEXT) | instid1(VALU_DEP_2)
	v_fmac_f32_e32 v122, 0x3f737871, v126
	v_fmac_f32_e32 v121, 0xbf737871, v125
	;; [unrolled: 1-line block ×3, first 2 shown]
	v_fmamk_f32 v118, v138, 0xbf737871, v74
	v_fmac_f32_e32 v74, 0x3f737871, v138
	s_delay_alu instid0(VALU_DEP_3) | instskip(SKIP_1) | instid1(VALU_DEP_3)
	v_fmac_f32_e32 v97, 0x3e9e377a, v4
	v_fmac_f32_e32 v119, 0x3e9e377a, v2
	;; [unrolled: 1-line block ×4, first 2 shown]
	v_mul_f32_e32 v4, 0xbf4f1bbd, v8
	s_delay_alu instid0(VALU_DEP_4) | instskip(NEXT) | instid1(VALU_DEP_4)
	v_mul_f32_e32 v124, 0x3f737871, v119
	v_fmac_f32_e32 v74, 0x3e9e377a, v3
	s_delay_alu instid0(VALU_DEP_4) | instskip(NEXT) | instid1(VALU_DEP_4)
	v_fmac_f32_e32 v118, 0x3e9e377a, v3
	v_fmac_f32_e32 v4, 0x3f167918, v9
	s_delay_alu instid0(VALU_DEP_4) | instskip(SKIP_1) | instid1(VALU_DEP_2)
	v_fmac_f32_e32 v124, 0x3e9e377a, v120
	v_mul_f32_e32 v120, 0xbf737871, v120
	v_add_f32_e32 v2, v118, v124
	s_delay_alu instid0(VALU_DEP_2) | instskip(NEXT) | instid1(VALU_DEP_1)
	v_dual_fmac_f32 v120, 0x3e9e377a, v119 :: v_dual_sub_f32 v119, v100, v113
	v_add_f32_e32 v3, v123, v120
	v_dual_fmac_f32 v75, 0x3e9e377a, v0 :: v_dual_add_f32 v0, v74, v122
	s_delay_alu instid0(VALU_DEP_1)
	v_add_f32_e32 v1, v75, v121
	ds_store_2addr_b64 v22, v[2:3], v[0:1] offset0:60 offset1:90
	v_dual_sub_f32 v0, v136, v146 :: v_dual_sub_f32 v1, v145, v147
	v_dual_add_f32 v2, v97, v4 :: v_dual_add_f32 v3, v96, v5
	ds_store_2addr_b64 v22, v[2:3], v[0:1] offset0:120 offset1:150
	v_dual_sub_f32 v0, v139, v72 :: v_dual_sub_f32 v1, v144, v73
	v_sub_f32_e32 v2, v118, v124
	v_sub_f32_e32 v3, v123, v120
	;; [unrolled: 1-line block ×3, first 2 shown]
	ds_store_2addr_b64 v22, v[0:1], v[2:3] offset0:180 offset1:210
	v_sub_f32_e32 v1, v75, v121
	v_add_f32_e32 v75, v99, v102
	v_dual_sub_f32 v3, v96, v5 :: v_dual_sub_f32 v0, v74, v122
	v_add_f32_e32 v96, v103, v108
	s_delay_alu instid0(VALU_DEP_3) | instskip(NEXT) | instid1(VALU_DEP_2)
	v_add_f32_e32 v75, v75, v109
	v_fma_f32 v96, -0.5, v96, v52
	s_delay_alu instid0(VALU_DEP_2) | instskip(SKIP_1) | instid1(VALU_DEP_2)
	v_add_f32_e32 v75, v75, v112
	v_sub_f32_e32 v2, v97, v4
	v_dual_add_f32 v75, v75, v116 :: v_dual_add_nc_u32 v4, 0x400, v22
	ds_store_2addr_b64 v4, v[0:1], v[2:3] offset0:112 offset1:142
	v_dual_add_f32 v3, v98, v104 :: v_dual_sub_f32 v0, v100, v103
	v_sub_f32_e32 v1, v113, v108
	s_delay_alu instid0(VALU_DEP_2) | instskip(NEXT) | instid1(VALU_DEP_1)
	v_dual_add_f32 v2, v53, v101 :: v_dual_add_f32 v3, v3, v110
	v_dual_add_f32 v2, v2, v105 :: v_dual_add_f32 v3, v3, v114
	s_delay_alu instid0(VALU_DEP_1)
	v_dual_add_f32 v2, v2, v111 :: v_dual_add_f32 v123, v3, v117
	s_clause 0x1
	scratch_store_b32 off, v22, off offset:304
	scratch_store_b32 off, v4, off offset:292
	v_add_f32_e32 v4, v0, v1
	v_dual_sub_f32 v0, v101, v105 :: v_dual_sub_f32 v1, v115, v111
	s_delay_alu instid0(VALU_DEP_1) | instskip(SKIP_2) | instid1(VALU_DEP_1)
	v_dual_add_f32 v122, v2, v115 :: v_dual_add_f32 v5, v0, v1
	v_sub_f32_e32 v0, v104, v110
	v_sub_f32_e32 v1, v117, v114
	v_add_f32_e32 v6, v0, v1
	v_dual_sub_f32 v0, v102, v109 :: v_dual_sub_f32 v1, v116, v112
	s_delay_alu instid0(VALU_DEP_1) | instskip(NEXT) | instid1(VALU_DEP_1)
	v_dual_add_f32 v7, v0, v1 :: v_dual_add_f32 v0, v110, v114
	v_fma_f32 v8, -0.5, v0, v98
	s_delay_alu instid0(VALU_DEP_1) | instskip(NEXT) | instid1(VALU_DEP_1)
	v_dual_add_f32 v0, v109, v112 :: v_dual_fmamk_f32 v1, v54, 0x3f737871, v8
	v_fma_f32 v9, -0.5, v0, v99
	s_delay_alu instid0(VALU_DEP_2) | instskip(NEXT) | instid1(VALU_DEP_2)
	v_fmac_f32_e32 v1, 0x3f167918, v55
	v_fmamk_f32 v0, v10, 0xbf737871, v9
	s_delay_alu instid0(VALU_DEP_2) | instskip(NEXT) | instid1(VALU_DEP_1)
	v_fmac_f32_e32 v1, 0x3e9e377a, v6
	v_dual_fmac_f32 v0, 0xbf167918, v11 :: v_dual_mul_f32 v73, 0xbf167918, v1
	s_delay_alu instid0(VALU_DEP_1) | instskip(NEXT) | instid1(VALU_DEP_1)
	v_fmac_f32_e32 v0, 0x3e9e377a, v7
	v_mul_f32_e32 v72, 0x3f167918, v0
	s_delay_alu instid0(VALU_DEP_3) | instskip(SKIP_2) | instid1(VALU_DEP_4)
	v_fmac_f32_e32 v73, 0x3f4f1bbd, v0
	v_mad_u16 v0, 0x12c, v106, v107
	v_sub_f32_e32 v106, v101, v115
	v_dual_sub_f32 v107, v105, v111 :: v_dual_fmac_f32 v72, 0x3f4f1bbd, v1
	s_delay_alu instid0(VALU_DEP_3) | instskip(NEXT) | instid1(VALU_DEP_3)
	v_dual_add_f32 v1, v105, v111 :: v_dual_and_b32 v124, 0xffff, v0
	v_fmamk_f32 v118, v106, 0x3f737871, v96
	s_delay_alu instid0(VALU_DEP_2) | instskip(NEXT) | instid1(VALU_DEP_2)
	v_fma_f32 v74, -0.5, v1, v53
	v_dual_add_f32 v1, v52, v100 :: v_dual_fmac_f32 v118, 0x3f167918, v107
	s_delay_alu instid0(VALU_DEP_4) | instskip(NEXT) | instid1(VALU_DEP_3)
	v_lshlrev_b32_e32 v249, 3, v124
	v_fmamk_f32 v121, v119, 0xbf737871, v74
	s_delay_alu instid0(VALU_DEP_3) | instskip(SKIP_1) | instid1(VALU_DEP_3)
	v_dual_add_f32 v1, v1, v103 :: v_dual_fmac_f32 v118, 0x3e9e377a, v4
	v_fmac_f32_e32 v74, 0x3f737871, v119
	v_fmac_f32_e32 v121, 0xbf167918, v120
	s_delay_alu instid0(VALU_DEP_3) | instskip(NEXT) | instid1(VALU_DEP_2)
	v_add_f32_e32 v1, v1, v108
	v_dual_add_f32 v2, v118, v72 :: v_dual_fmac_f32 v121, 0x3e9e377a, v5
	s_delay_alu instid0(VALU_DEP_2) | instskip(SKIP_1) | instid1(VALU_DEP_3)
	v_add_f32_e32 v97, v1, v113
	v_add_f32_e32 v1, v122, v75
	;; [unrolled: 1-line block ×3, first 2 shown]
	s_delay_alu instid0(VALU_DEP_3) | instskip(SKIP_4) | instid1(VALU_DEP_3)
	v_add_f32_e32 v0, v97, v123
	ds_store_2addr_b64 v249, v[0:1], v[2:3] offset1:30
	v_add_f32_e32 v0, v101, v115
	v_sub_f32_e32 v1, v111, v115
	v_add_f32_e32 v3, v104, v117
	v_dual_fmac_f32 v53, -0.5, v0 :: v_dual_sub_f32 v0, v105, v101
	v_sub_f32_e32 v2, v110, v104
	v_sub_f32_e32 v101, v114, v117
	s_delay_alu instid0(VALU_DEP_4) | instskip(NEXT) | instid1(VALU_DEP_4)
	v_dual_sub_f32 v105, v112, v116 :: v_dual_fmac_f32 v98, -0.5, v3
	v_dual_fmac_f32 v9, 0x3f737871, v10 :: v_dual_add_f32 v0, v0, v1
	s_delay_alu instid0(VALU_DEP_3) | instskip(SKIP_1) | instid1(VALU_DEP_3)
	v_dual_sub_f32 v104, v109, v102 :: v_dual_add_f32 v1, v2, v101
	v_sub_f32_e32 v3, v103, v100
	v_fmac_f32_e32 v9, 0x3f167918, v11
	v_sub_f32_e32 v101, v108, v113
	s_delay_alu instid0(VALU_DEP_4) | instskip(SKIP_1) | instid1(VALU_DEP_4)
	v_add_f32_e32 v2, v104, v105
	v_add_f32_e32 v102, v102, v116
	v_dual_add_f32 v100, v100, v113 :: v_dual_fmac_f32 v9, 0x3e9e377a, v7
	s_delay_alu instid0(VALU_DEP_4) | instskip(NEXT) | instid1(VALU_DEP_3)
	v_add_f32_e32 v3, v3, v101
	v_fmac_f32_e32 v99, -0.5, v102
	v_fmac_f32_e32 v8, 0xbf737871, v54
	s_delay_alu instid0(VALU_DEP_4) | instskip(NEXT) | instid1(VALU_DEP_3)
	v_fma_f32 v52, -0.5, v100, v52
	v_fmamk_f32 v101, v11, 0x3f737871, v99
	v_fmac_f32_e32 v99, 0xbf737871, v11
	s_delay_alu instid0(VALU_DEP_2) | instskip(NEXT) | instid1(VALU_DEP_2)
	v_dual_fmac_f32 v8, 0xbf167918, v55 :: v_dual_fmac_f32 v101, 0xbf167918, v10
	v_fmac_f32_e32 v99, 0x3f167918, v10
	v_fmac_f32_e32 v96, 0xbf737871, v106
	s_delay_alu instid0(VALU_DEP_3) | instskip(NEXT) | instid1(VALU_DEP_4)
	v_fmac_f32_e32 v8, 0x3e9e377a, v6
	v_fmac_f32_e32 v101, 0x3e9e377a, v2
	s_delay_alu instid0(VALU_DEP_4) | instskip(NEXT) | instid1(VALU_DEP_4)
	v_fmac_f32_e32 v99, 0x3e9e377a, v2
	v_fmac_f32_e32 v96, 0xbf167918, v107
	;; [unrolled: 1-line block ×3, first 2 shown]
	v_fmamk_f32 v100, v120, 0x3f737871, v53
	v_fmac_f32_e32 v53, 0xbf737871, v120
	v_mul_f32_e32 v104, 0x3f737871, v101
	v_fmac_f32_e32 v96, 0x3e9e377a, v4
	v_fmac_f32_e32 v74, 0x3e9e377a, v5
	v_dual_mul_f32 v4, 0xbf4f1bbd, v8 :: v_dual_mul_f32 v5, 0xbf4f1bbd, v9
	v_fmac_f32_e32 v100, 0xbf167918, v119
	v_fmac_f32_e32 v53, 0x3f167918, v119
	v_mul_f32_e32 v103, 0xbe9e377a, v99
	s_delay_alu instid0(VALU_DEP_4)
	v_fmac_f32_e32 v4, 0x3f167918, v9
	v_fmac_f32_e32 v5, 0xbf167918, v8
	v_fmamk_f32 v102, v55, 0xbf737871, v98
	v_fmac_f32_e32 v98, 0x3f737871, v55
	v_fmac_f32_e32 v53, 0x3e9e377a, v0
	;; [unrolled: 1-line block ×3, first 2 shown]
	s_delay_alu instid0(VALU_DEP_4) | instskip(NEXT) | instid1(VALU_DEP_4)
	v_fmac_f32_e32 v102, 0x3f167918, v54
	v_fmac_f32_e32 v98, 0xbf167918, v54
	s_delay_alu instid0(VALU_DEP_2) | instskip(NEXT) | instid1(VALU_DEP_1)
	v_fmac_f32_e32 v102, 0x3e9e377a, v1
	v_fmac_f32_e32 v104, 0x3e9e377a, v102
	v_mul_f32_e32 v102, 0xbf737871, v102
	s_delay_alu instid0(VALU_DEP_1) | instskip(SKIP_1) | instid1(VALU_DEP_1)
	v_fmac_f32_e32 v102, 0x3e9e377a, v101
	v_fmac_f32_e32 v98, 0x3e9e377a, v1
	;; [unrolled: 1-line block ×3, first 2 shown]
	s_delay_alu instid0(VALU_DEP_1) | instskip(NEXT) | instid1(VALU_DEP_1)
	v_dual_mul_f32 v98, 0xbe9e377a, v98 :: v_dual_add_f32 v1, v53, v103
	v_fmac_f32_e32 v98, 0x3f737871, v99
	v_fmamk_f32 v99, v107, 0xbf737871, v52
	v_fmac_f32_e32 v52, 0x3f737871, v107
	s_delay_alu instid0(VALU_DEP_2) | instskip(NEXT) | instid1(VALU_DEP_2)
	v_fmac_f32_e32 v99, 0x3f167918, v106
	v_fmac_f32_e32 v52, 0xbf167918, v106
	s_delay_alu instid0(VALU_DEP_2) | instskip(NEXT) | instid1(VALU_DEP_2)
	v_fmac_f32_e32 v99, 0x3e9e377a, v3
	v_dual_fmac_f32 v52, 0x3e9e377a, v3 :: v_dual_add_f32 v3, v100, v102
	s_delay_alu instid0(VALU_DEP_2) | instskip(NEXT) | instid1(VALU_DEP_2)
	v_add_f32_e32 v2, v99, v104
	v_add_f32_e32 v0, v52, v98
	ds_store_2addr_b64 v249, v[2:3], v[0:1] offset0:60 offset1:90
	v_sub_f32_e32 v0, v97, v123
	v_dual_sub_f32 v1, v122, v75 :: v_dual_add_f32 v2, v96, v4
	v_add_f32_e32 v3, v74, v5
	ds_store_2addr_b64 v249, v[2:3], v[0:1] offset0:120 offset1:150
	v_dual_sub_f32 v0, v118, v72 :: v_dual_sub_f32 v1, v121, v73
	v_dual_sub_f32 v2, v99, v104 :: v_dual_sub_f32 v3, v100, v102
	ds_store_2addr_b64 v249, v[0:1], v[2:3] offset0:180 offset1:210
	v_dual_sub_f32 v1, v53, v103 :: v_dual_sub_f32 v0, v52, v98
	v_dual_sub_f32 v2, v96, v4 :: v_dual_sub_f32 v3, v74, v5
	v_add_nc_u32_e32 v4, 0x400, v249
	ds_store_2addr_b64 v4, v[0:1], v[2:3] offset0:112 offset1:142
	v_mad_u64_u32 v[1:2], null, 0x48, v12, s[10:11]
	scratch_store_b32 off, v4, off offset:300 ; 4-byte Folded Spill
	s_waitcnt lgkmcnt(0)
	s_waitcnt_vscnt null, 0x0
	s_barrier
	buffer_gl0_inv
	ds_load_2addr_b64 v[4:7], v14 offset0:88 offset1:188
	v_add_co_u32 v8, vcc_lo, 0x1c20, v1
	s_clause 0x1
	global_load_b128 v[52:55], v[1:2], off offset:2320
	global_load_b128 v[72:75], v[1:2], off offset:2336
	v_add_co_ci_u32_e32 v9, vcc_lo, 0, v2, vcc_lo
	s_clause 0x1
	global_load_b64 v[193:194], v[1:2], off offset:2384
	global_load_b128 v[96:99], v[8:9], off offset:2320
	v_add_co_u32 v140, vcc_lo, 0x3840, v1
	v_add_co_ci_u32_e32 v141, vcc_lo, 0, v2, vcc_lo
	s_waitcnt vmcnt(3) lgkmcnt(0)
	v_mul_f32_e32 v0, v5, v55
	v_mul_f32_e32 v192, v4, v55
	s_delay_alu instid0(VALU_DEP_2) | instskip(SKIP_2) | instid1(VALU_DEP_3)
	v_fma_f32 v10, v4, v54, -v0
	s_waitcnt vmcnt(0)
	v_mul_f32_e32 v0, v7, v99
	v_dual_mul_f32 v167, v6, v99 :: v_dual_fmac_f32 v192, v5, v54
	s_delay_alu instid0(VALU_DEP_2) | instskip(NEXT) | instid1(VALU_DEP_2)
	v_fma_f32 v168, v6, v98, -v0
	v_fmac_f32_e32 v167, v7, v98
	ds_load_2addr_b64 v[4:7], v251 offset0:48 offset1:148
	s_clause 0x3
	global_load_b128 v[100:103], v[8:9], off offset:2336
	global_load_b128 v[112:115], v[8:9], off offset:2352
	global_load_b128 v[104:107], v[1:2], off offset:2352
	global_load_b128 v[116:119], v[1:2], off offset:2368
	s_waitcnt lgkmcnt(0)
	v_mul_f32_e32 v0, v5, v75
	v_mul_f32_e32 v185, v4, v75
	s_delay_alu instid0(VALU_DEP_2) | instskip(SKIP_1) | instid1(VALU_DEP_2)
	v_fma_f32 v11, v4, v74, -v0
	s_waitcnt vmcnt(3)
	v_dual_fmac_f32 v185, v5, v74 :: v_dual_mul_f32 v0, v7, v103
	v_mul_f32_e32 v169, v6, v103
	s_delay_alu instid0(VALU_DEP_2) | instskip(NEXT) | instid1(VALU_DEP_2)
	v_fma_f32 v170, v6, v102, -v0
	v_fmac_f32_e32 v169, v7, v102
	ds_load_2addr_b64 v[4:7], v143 offset0:8 offset1:108
	s_waitcnt vmcnt(1) lgkmcnt(0)
	v_mul_f32_e32 v0, v5, v107
	v_mul_f32_e32 v196, v4, v107
	;; [unrolled: 1-line block ×3, first 2 shown]
	s_delay_alu instid0(VALU_DEP_3) | instskip(SKIP_1) | instid1(VALU_DEP_4)
	v_fma_f32 v187, v4, v106, -v0
	v_mul_f32_e32 v0, v7, v115
	v_fmac_f32_e32 v196, v5, v106
	s_delay_alu instid0(VALU_DEP_4) | instskip(NEXT) | instid1(VALU_DEP_4)
	v_fmac_f32_e32 v171, v7, v114
	v_sub_f32_e32 v2, v11, v187
	s_delay_alu instid0(VALU_DEP_4)
	v_fma_f32 v29, v6, v114, -v0
	ds_load_2addr_b64 v[4:7], v16 offset0:96 offset1:196
	s_clause 0x1
	global_load_b64 v[241:242], v[8:9], off offset:2384
	global_load_b128 v[124:127], v[8:9], off offset:2368
	s_waitcnt vmcnt(2) lgkmcnt(0)
	v_mul_f32_e32 v200, v4, v119
	s_delay_alu instid0(VALU_DEP_1) | instskip(SKIP_1) | instid1(VALU_DEP_1)
	v_fmac_f32_e32 v200, v5, v118
	v_mul_f32_e32 v0, v5, v119
	v_fma_f32 v199, v4, v118, -v0
	s_waitcnt vmcnt(0)
	v_mul_f32_e32 v0, v7, v127
	v_mul_f32_e32 v8, v6, v127
	s_delay_alu instid0(VALU_DEP_2) | instskip(NEXT) | instid1(VALU_DEP_2)
	v_fma_f32 v26, v6, v126, -v0
	v_fmac_f32_e32 v8, v7, v126
	ds_load_2addr_b64 v[4:7], v19 offset0:144 offset1:244
	s_clause 0x1
	global_load_b128 v[108:111], v[140:141], off offset:2320
	global_load_b128 v[120:123], v[140:141], off offset:2336
	ds_load_2addr_b64 v[128:131], v142 offset0:104 offset1:204
	ds_load_2addr_b64 v[134:137], v217 offset0:64 offset1:164
	s_waitcnt lgkmcnt(2)
	v_mul_f32_e32 v1, v5, v97
	v_mul_f32_e32 v164, v4, v97
	s_waitcnt lgkmcnt(1)
	v_mul_f32_e32 v184, v128, v101
	s_delay_alu instid0(VALU_DEP_3) | instskip(NEXT) | instid1(VALU_DEP_3)
	v_fma_f32 v163, v4, v96, -v1
	v_fmac_f32_e32 v164, v5, v96
	s_waitcnt vmcnt(1)
	s_delay_alu instid0(VALU_DEP_3) | instskip(SKIP_1) | instid1(VALU_DEP_2)
	v_dual_fmac_f32 v184, v129, v100 :: v_dual_mul_f32 v1, v7, v109
	v_mul_f32_e32 v160, v6, v109
	v_fma_f32 v159, v6, v108, -v1
	s_delay_alu instid0(VALU_DEP_2) | instskip(SKIP_4) | instid1(VALU_DEP_2)
	v_fmac_f32_e32 v160, v7, v108
	ds_load_2addr_b64 v[4:7], v18 offset0:32 offset1:132
	s_waitcnt lgkmcnt(0)
	v_mul_f32_e32 v1, v7, v73
	v_mul_f32_e32 v202, v6, v73
	v_fma_f32 v201, v6, v72, -v1
	s_delay_alu instid0(VALU_DEP_2) | instskip(SKIP_2) | instid1(VALU_DEP_2)
	v_dual_mul_f32 v1, v5, v111 :: v_dual_fmac_f32 v202, v7, v72
	s_waitcnt vmcnt(0)
	v_dual_mul_f32 v7, v130, v121 :: v_dual_mul_f32 v6, v4, v111
	v_fma_f32 v150, v4, v110, -v1
	v_mul_f32_e32 v1, v129, v101
	s_delay_alu instid0(VALU_DEP_3) | instskip(NEXT) | instid1(VALU_DEP_2)
	v_fmac_f32_e32 v7, v131, v120
	v_fma_f32 v24, v128, v100, -v1
	v_mul_f32_e32 v1, v131, v121
	s_delay_alu instid0(VALU_DEP_1)
	v_fma_f32 v28, v130, v120, -v1
	ds_load_2addr_b64 v[128:131], v250 offset0:120 offset1:220
	s_waitcnt lgkmcnt(0)
	v_dual_sub_f32 v1, v10, v199 :: v_dual_mul_f32 v4, v131, v105
	v_mul_f32_e32 v204, v130, v105
	v_mul_f32_e32 v152, v128, v123
	s_delay_alu instid0(VALU_DEP_3) | instskip(SKIP_1) | instid1(VALU_DEP_4)
	v_fma_f32 v203, v130, v104, -v4
	v_mul_f32_e32 v4, v129, v123
	v_fmac_f32_e32 v204, v131, v104
	v_mul_f32_e32 v186, v134, v113
	v_fmac_f32_e32 v152, v129, v122
	s_delay_alu instid0(VALU_DEP_4) | instskip(SKIP_1) | instid1(VALU_DEP_4)
	v_fma_f32 v151, v128, v122, -v4
	v_mul_f32_e32 v4, v135, v113
	v_fmac_f32_e32 v186, v135, v112
	s_delay_alu instid0(VALU_DEP_2)
	v_fma_f32 v20, v134, v112, -v4
	s_clause 0x2
	global_load_b128 v[128:131], v[140:141], off offset:2352
	global_load_b128 v[132:135], v[140:141], off offset:2368
	global_load_b64 v[243:244], v[140:141], off offset:2384
	s_waitcnt vmcnt(2)
	v_mul_f32_e32 v4, v137, v129
	v_mul_f32_e32 v154, v136, v129
	s_delay_alu instid0(VALU_DEP_2) | instskip(NEXT) | instid1(VALU_DEP_2)
	v_fma_f32 v153, v136, v128, -v4
	v_fmac_f32_e32 v154, v137, v128
	ds_load_2addr_b64 v[136:139], v17 offset0:80 offset1:180
	s_waitcnt lgkmcnt(0)
	v_mul_f32_e32 v4, v139, v117
	v_mul_f32_e32 v206, v138, v117
	;; [unrolled: 1-line block ×3, first 2 shown]
	s_delay_alu instid0(VALU_DEP_3) | instskip(SKIP_1) | instid1(VALU_DEP_4)
	v_fma_f32 v205, v138, v116, -v4
	v_mul_f32_e32 v4, v137, v131
	v_fmac_f32_e32 v206, v139, v116
	s_delay_alu instid0(VALU_DEP_4) | instskip(NEXT) | instid1(VALU_DEP_3)
	v_fmac_f32_e32 v156, v137, v130
	v_fma_f32 v155, v136, v130, -v4
	ds_load_2addr_b64 v[136:139], v195 offset0:152 offset1:252
	s_waitcnt lgkmcnt(0)
	v_mul_f32_e32 v4, v137, v125
	v_mul_f32_e32 v188, v136, v125
	s_waitcnt vmcnt(1)
	v_mul_f32_e32 v158, v138, v133
	s_delay_alu instid0(VALU_DEP_3) | instskip(SKIP_2) | instid1(VALU_DEP_4)
	v_fma_f32 v16, v136, v124, -v4
	v_mul_f32_e32 v4, v139, v133
	v_fmac_f32_e32 v188, v137, v124
	v_fmac_f32_e32 v158, v139, v132
	s_delay_alu instid0(VALU_DEP_3) | instskip(SKIP_4) | instid1(VALU_DEP_2)
	v_fma_f32 v157, v138, v132, -v4
	ds_load_2addr_b64 v[136:139], v13 offset0:40 offset1:140
	s_waitcnt lgkmcnt(0)
	v_mul_f32_e32 v4, v139, v194
	v_mul_f32_e32 v208, v138, v194
	v_fma_f32 v207, v138, v193, -v4
	v_mul_f32_e32 v4, v137, v135
	s_delay_alu instid0(VALU_DEP_2) | instskip(SKIP_2) | instid1(VALU_DEP_4)
	v_dual_fmac_f32 v208, v139, v193 :: v_dual_add_f32 v27, v201, v207
	v_sub_f32_e32 v18, v204, v206
	v_mul_f32_e32 v162, v136, v135
	v_fma_f32 v161, v136, v134, -v4
	v_sub_f32_e32 v13, v201, v207
	s_delay_alu instid0(VALU_DEP_3)
	v_fmac_f32_e32 v162, v137, v134
	ds_load_2addr_b64 v[136:139], v189 offset0:112 offset1:212
	s_waitcnt lgkmcnt(0)
	v_mul_f32_e32 v4, v137, v242
	v_mul_f32_e32 v190, v136, v242
	s_waitcnt vmcnt(0)
	v_mul_f32_e32 v166, v138, v244
	s_delay_alu instid0(VALU_DEP_3) | instskip(SKIP_2) | instid1(VALU_DEP_4)
	v_fma_f32 v12, v136, v241, -v4
	v_mul_f32_e32 v136, v139, v244
	v_fmac_f32_e32 v190, v137, v241
	v_fmac_f32_e32 v166, v139, v243
	v_sub_f32_e32 v4, v202, v208
	s_delay_alu instid0(VALU_DEP_4)
	v_fma_f32 v165, v138, v243, -v136
	ds_load_2addr_b64 v[136:139], v15 offset0:72 offset1:172
	v_sub_f32_e32 v15, v203, v205
	s_waitcnt lgkmcnt(0)
	v_mul_f32_e32 v140, v139, v53
	v_mul_f32_e32 v210, v138, v53
	s_delay_alu instid0(VALU_DEP_2) | instskip(NEXT) | instid1(VALU_DEP_2)
	v_fma_f32 v209, v138, v52, -v140
	v_fmac_f32_e32 v210, v139, v52
	ds_load_2addr_b64 v[138:141], v247 offset1:100
	v_dual_add_f32 v146, v209, v201 :: v_dual_add_f32 v147, v210, v202
	s_delay_alu instid0(VALU_DEP_1) | instskip(NEXT) | instid1(VALU_DEP_1)
	v_dual_add_f32 v146, v146, v203 :: v_dual_add_f32 v147, v147, v204
	v_dual_add_f32 v146, v146, v205 :: v_dual_add_f32 v147, v147, v206
	s_delay_alu instid0(VALU_DEP_1) | instskip(SKIP_2) | instid1(VALU_DEP_1)
	v_dual_add_f32 v146, v146, v207 :: v_dual_add_f32 v147, v147, v208
	s_waitcnt lgkmcnt(0)
	v_dual_add_f32 v144, v138, v10 :: v_dual_add_f32 v145, v139, v192
	v_dual_add_f32 v144, v144, v11 :: v_dual_add_f32 v145, v145, v185
	s_delay_alu instid0(VALU_DEP_1) | instskip(NEXT) | instid1(VALU_DEP_1)
	v_dual_add_f32 v144, v144, v187 :: v_dual_add_f32 v145, v145, v196
	v_dual_add_f32 v180, v144, v199 :: v_dual_add_f32 v181, v145, v200
	s_delay_alu instid0(VALU_DEP_1) | instskip(SKIP_3) | instid1(VALU_DEP_1)
	v_dual_add_f32 v144, v180, v146 :: v_dual_add_f32 v145, v181, v147
	v_dual_sub_f32 v146, v180, v146 :: v_dual_sub_f32 v147, v181, v147
	v_sub_f32_e32 v180, v10, v11
	v_sub_f32_e32 v181, v199, v187
	v_add_f32_e32 v211, v180, v181
	v_sub_f32_e32 v180, v192, v185
	v_sub_f32_e32 v181, v200, v196
	s_delay_alu instid0(VALU_DEP_1) | instskip(SKIP_1) | instid1(VALU_DEP_1)
	v_add_f32_e32 v212, v180, v181
	v_dual_sub_f32 v180, v201, v203 :: v_dual_sub_f32 v181, v207, v205
	v_dual_add_f32 v213, v180, v181 :: v_dual_sub_f32 v180, v202, v204
	v_sub_f32_e32 v181, v208, v206
	s_delay_alu instid0(VALU_DEP_1) | instskip(SKIP_1) | instid1(VALU_DEP_1)
	v_add_f32_e32 v214, v180, v181
	v_add_f32_e32 v180, v203, v205
	v_fma_f32 v218, -0.5, v180, v209
	v_dual_add_f32 v180, v204, v206 :: v_dual_fmac_f32 v209, -0.5, v27
	s_delay_alu instid0(VALU_DEP_2) | instskip(NEXT) | instid1(VALU_DEP_2)
	v_fmamk_f32 v17, v4, 0x3f737871, v218
	v_fma_f32 v0, -0.5, v180, v210
	v_fmac_f32_e32 v218, 0xbf737871, v4
	s_delay_alu instid0(VALU_DEP_3) | instskip(NEXT) | instid1(VALU_DEP_3)
	v_fmac_f32_e32 v17, 0x3f167918, v18
	v_fmamk_f32 v14, v13, 0xbf737871, v0
	v_fmac_f32_e32 v0, 0x3f737871, v13
	s_delay_alu instid0(VALU_DEP_3) | instskip(NEXT) | instid1(VALU_DEP_3)
	v_fmac_f32_e32 v17, 0x3e9e377a, v213
	v_dual_fmac_f32 v14, 0xbf167918, v15 :: v_dual_sub_f32 v3, v192, v200
	s_delay_alu instid0(VALU_DEP_3) | instskip(NEXT) | instid1(VALU_DEP_2)
	v_fmac_f32_e32 v0, 0x3f167918, v15
	v_fmac_f32_e32 v14, 0x3e9e377a, v214
	s_delay_alu instid0(VALU_DEP_2) | instskip(NEXT) | instid1(VALU_DEP_2)
	v_fmac_f32_e32 v0, 0x3e9e377a, v214
	v_mul_f32_e32 v19, 0x3f167918, v14
	s_delay_alu instid0(VALU_DEP_1) | instskip(SKIP_2) | instid1(VALU_DEP_2)
	v_fmac_f32_e32 v19, 0x3f4f1bbd, v17
	v_mul_f32_e32 v17, 0xbf167918, v17
	v_add_f32_e32 v23, v185, v196
	v_dual_sub_f32 v22, v185, v196 :: v_dual_fmac_f32 v17, 0x3f4f1bbd, v14
	v_add_f32_e32 v14, v11, v187
	s_delay_alu instid0(VALU_DEP_3)
	v_fma_f32 v23, -0.5, v23, v139
	v_sub_f32_e32 v11, v11, v10
	v_fmac_f32_e32 v6, v5, v110
	v_add_f32_e32 v10, v10, v199
	v_fma_f32 v14, -0.5, v14, v138
	v_fmamk_f32 v25, v1, 0xbf737871, v23
	v_dual_sub_f32 v5, v151, v155 :: v_dual_fmac_f32 v218, 0xbf167918, v18
	s_delay_alu instid0(VALU_DEP_4) | instskip(NEXT) | instid1(VALU_DEP_4)
	v_fma_f32 v10, -0.5, v10, v138
	v_fmamk_f32 v21, v3, 0x3f737871, v14
	s_delay_alu instid0(VALU_DEP_4)
	v_fmac_f32_e32 v25, 0xbf167918, v2
	v_fmac_f32_e32 v14, 0xbf737871, v3
	;; [unrolled: 1-line block ×7, first 2 shown]
	s_delay_alu instid0(VALU_DEP_3) | instskip(NEXT) | instid1(VALU_DEP_3)
	v_fmac_f32_e32 v21, 0x3e9e377a, v211
	v_add_f32_e32 v181, v25, v17
	v_sub_f32_e32 v183, v25, v17
	v_sub_f32_e32 v17, v187, v199
	s_delay_alu instid0(VALU_DEP_4) | instskip(SKIP_1) | instid1(VALU_DEP_3)
	v_dual_sub_f32 v25, v203, v201 :: v_dual_add_f32 v180, v21, v19
	v_dual_sub_f32 v182, v21, v19 :: v_dual_add_f32 v19, v192, v200
	v_add_f32_e32 v11, v11, v17
	v_sub_f32_e32 v17, v185, v192
	v_add_f32_e32 v192, v202, v208
	v_sub_f32_e32 v21, v196, v200
	v_fma_f32 v19, -0.5, v19, v139
	v_sub_f32_e32 v185, v205, v207
	s_delay_alu instid0(VALU_DEP_4) | instskip(NEXT) | instid1(VALU_DEP_3)
	v_dual_sub_f32 v187, v204, v202 :: v_dual_fmac_f32 v210, -0.5, v192
	v_dual_add_f32 v17, v17, v21 :: v_dual_fmamk_f32 v192, v2, 0x3f737871, v19
	v_dual_fmac_f32 v19, 0xbf737871, v2 :: v_dual_sub_f32 v196, v206, v208
	s_delay_alu instid0(VALU_DEP_3) | instskip(SKIP_2) | instid1(VALU_DEP_4)
	v_fmamk_f32 v27, v15, 0x3f737871, v210
	v_add_f32_e32 v21, v25, v185
	v_dual_fmamk_f32 v185, v18, 0xbf737871, v209 :: v_dual_fmac_f32 v210, 0xbf737871, v15
	v_add_f32_e32 v25, v187, v196
	s_delay_alu instid0(VALU_DEP_4) | instskip(SKIP_1) | instid1(VALU_DEP_4)
	v_fmac_f32_e32 v27, 0xbf167918, v13
	v_fmac_f32_e32 v209, 0x3f737871, v18
	v_dual_fmac_f32 v185, 0x3f167918, v4 :: v_dual_fmac_f32 v210, 0x3f167918, v13
	v_fmac_f32_e32 v19, 0x3f167918, v1
	s_delay_alu instid0(VALU_DEP_4) | instskip(NEXT) | instid1(VALU_DEP_4)
	v_fmac_f32_e32 v27, 0x3e9e377a, v25
	v_fmac_f32_e32 v209, 0xbf167918, v4
	s_delay_alu instid0(VALU_DEP_4)
	v_fmac_f32_e32 v185, 0x3e9e377a, v21
	v_fmac_f32_e32 v210, 0x3e9e377a, v25
	;; [unrolled: 1-line block ×3, first 2 shown]
	v_mul_f32_e32 v187, 0x3f737871, v27
	v_fmac_f32_e32 v192, 0xbf167918, v1
	v_fmac_f32_e32 v209, 0x3e9e377a, v21
	v_dual_mul_f32 v1, 0xbf4f1bbd, v218 :: v_dual_sub_f32 v4, v150, v161
	s_delay_alu instid0(VALU_DEP_4) | instskip(SKIP_2) | instid1(VALU_DEP_4)
	v_fmac_f32_e32 v187, 0x3e9e377a, v185
	v_mul_f32_e32 v185, 0xbf737871, v185
	v_fmac_f32_e32 v192, 0x3e9e377a, v17
	v_fmac_f32_e32 v1, 0x3f167918, v0
	v_mul_f32_e32 v0, 0xbf4f1bbd, v0
	v_fmac_f32_e32 v19, 0x3e9e377a, v17
	v_fmac_f32_e32 v185, 0x3e9e377a, v27
	v_fmamk_f32 v27, v22, 0xbf737871, v10
	v_fmac_f32_e32 v10, 0x3f737871, v22
	v_dual_fmac_f32 v0, 0xbf167918, v218 :: v_dual_add_f32 v205, v14, v1
	v_sub_f32_e32 v207, v14, v1
	s_delay_alu instid0(VALU_DEP_4) | instskip(NEXT) | instid1(VALU_DEP_4)
	v_fmac_f32_e32 v27, 0x3f167918, v3
	v_dual_fmac_f32 v10, 0xbf167918, v3 :: v_dual_add_f32 v3, v164, v184
	v_add_f32_e32 v1, v141, v167
	v_mul_f32_e32 v17, 0xbe9e377a, v210
	s_delay_alu instid0(VALU_DEP_4) | instskip(NEXT) | instid1(VALU_DEP_4)
	v_fmac_f32_e32 v27, 0x3e9e377a, v11
	v_dual_fmac_f32 v10, 0x3e9e377a, v11 :: v_dual_add_f32 v3, v3, v186
	v_mul_f32_e32 v11, 0xbe9e377a, v209
	s_delay_alu instid0(VALU_DEP_3) | instskip(SKIP_1) | instid1(VALU_DEP_4)
	v_dual_add_f32 v1, v1, v169 :: v_dual_add_f32 v138, v27, v187
	v_sub_f32_e32 v199, v27, v187
	v_add_f32_e32 v3, v3, v188
	v_sub_f32_e32 v27, v186, v188
	v_fmac_f32_e32 v23, 0x3f167918, v2
	v_fmac_f32_e32 v11, 0x3f737871, v210
	v_add_f32_e32 v1, v1, v171
	v_add_f32_e32 v13, v3, v190
	;; [unrolled: 1-line block ×3, first 2 shown]
	v_fmac_f32_e32 v23, 0x3e9e377a, v212
	v_add_f32_e32 v201, v10, v11
	v_dual_sub_f32 v203, v10, v11 :: v_dual_add_f32 v10, v1, v8
	s_delay_alu instid0(VALU_DEP_3)
	v_dual_sub_f32 v1, v26, v29 :: v_dual_add_f32 v206, v23, v0
	v_sub_f32_e32 v208, v23, v0
	v_dual_add_f32 v0, v140, v168 :: v_dual_fmac_f32 v17, 0xbf737871, v209
	v_sub_f32_e32 v25, v184, v190
	v_sub_f32_e32 v200, v192, v185
	v_sub_f32_e32 v23, v20, v16
	s_delay_alu instid0(VALU_DEP_4)
	v_add_f32_e32 v0, v0, v170
	v_add_f32_e32 v202, v19, v17
	v_sub_f32_e32 v204, v19, v17
	v_sub_f32_e32 v210, v170, v29
	;; [unrolled: 1-line block ×3, first 2 shown]
	v_add_f32_e32 v0, v0, v29
	v_sub_f32_e32 v196, v153, v157
	v_add_f32_e32 v2, v163, v24
	v_dual_sub_f32 v212, v6, v162 :: v_dual_sub_f32 v3, v20, v24
	s_delay_alu instid0(VALU_DEP_4) | instskip(SKIP_1) | instid1(VALU_DEP_4)
	v_add_f32_e32 v9, v0, v26
	v_sub_f32_e32 v0, v168, v170
	v_add_f32_e32 v2, v2, v20
	v_sub_f32_e32 v214, v152, v156
	v_add_f32_e32 v30, v137, v6
	s_delay_alu instid0(VALU_DEP_4) | instskip(SKIP_1) | instid1(VALU_DEP_1)
	v_add_f32_e32 v14, v0, v1
	v_dual_sub_f32 v0, v167, v169 :: v_dual_sub_f32 v1, v8, v171
	v_dual_add_f32 v2, v2, v16 :: v_dual_add_f32 v15, v0, v1
	v_sub_f32_e32 v0, v24, v20
	v_sub_f32_e32 v1, v12, v16
	s_delay_alu instid0(VALU_DEP_3) | instskip(NEXT) | instid1(VALU_DEP_2)
	v_add_f32_e32 v11, v2, v12
	v_add_f32_e32 v17, v0, v1
	v_dual_sub_f32 v0, v184, v186 :: v_dual_sub_f32 v1, v190, v188
	s_delay_alu instid0(VALU_DEP_1) | instskip(SKIP_1) | instid1(VALU_DEP_1)
	v_add_f32_e32 v18, v0, v1
	v_add_f32_e32 v0, v20, v16
	v_fma_f32 v19, -0.5, v0, v163
	s_delay_alu instid0(VALU_DEP_1) | instskip(NEXT) | instid1(VALU_DEP_1)
	v_dual_add_f32 v0, v186, v188 :: v_dual_fmamk_f32 v1, v25, 0x3f737871, v19
	v_fma_f32 v21, -0.5, v0, v164
	v_dual_fmac_f32 v19, 0xbf737871, v25 :: v_dual_add_f32 v2, v168, v26
	s_delay_alu instid0(VALU_DEP_3) | instskip(NEXT) | instid1(VALU_DEP_2)
	v_fmac_f32_e32 v1, 0x3f167918, v27
	v_fmac_f32_e32 v19, 0xbf167918, v27
	s_delay_alu instid0(VALU_DEP_2)
	v_fmac_f32_e32 v1, 0x3e9e377a, v17
	ds_store_b64 v247, v[180:181] offset:2400
	ds_store_b64 v247, v[138:139] offset:4800
	;; [unrolled: 1-line block ×9, first 2 shown]
	v_sub_f32_e32 v206, v169, v171
	v_sub_f32_e32 v22, v24, v12
	v_dual_sub_f32 v208, v168, v26 :: v_dual_mul_f32 v147, 0xbf167918, v1
	v_sub_f32_e32 v200, v154, v158
	v_sub_f32_e32 v204, v167, v8
	s_delay_alu instid0(VALU_DEP_4) | instskip(SKIP_2) | instid1(VALU_DEP_3)
	v_dual_fmamk_f32 v0, v22, 0xbf737871, v21 :: v_dual_sub_f32 v199, v7, v166
	v_dual_add_f32 v138, v9, v11 :: v_dual_fmac_f32 v19, 0x3e9e377a, v17
	v_add_nc_u32_e32 v17, 0x3c00, v247
	v_fmac_f32_e32 v0, 0xbf167918, v23
	s_delay_alu instid0(VALU_DEP_1) | instskip(NEXT) | instid1(VALU_DEP_1)
	v_fmac_f32_e32 v0, 0x3e9e377a, v18
	v_mul_f32_e32 v146, 0x3f167918, v0
	v_dual_fmac_f32 v147, 0x3f4f1bbd, v0 :: v_dual_sub_f32 v0, v150, v151
	s_delay_alu instid0(VALU_DEP_2) | instskip(NEXT) | instid1(VALU_DEP_1)
	v_dual_fmac_f32 v146, 0x3f4f1bbd, v1 :: v_dual_sub_f32 v1, v161, v155
	v_add_f32_e32 v180, v0, v1
	v_sub_f32_e32 v0, v6, v152
	v_sub_f32_e32 v1, v162, v156
	s_delay_alu instid0(VALU_DEP_1) | instskip(SKIP_2) | instid1(VALU_DEP_1)
	v_add_f32_e32 v181, v0, v1
	v_sub_f32_e32 v0, v28, v153
	v_sub_f32_e32 v1, v165, v157
	v_add_f32_e32 v182, v0, v1
	v_sub_f32_e32 v0, v7, v154
	v_sub_f32_e32 v1, v166, v158
	s_delay_alu instid0(VALU_DEP_1) | instskip(SKIP_1) | instid1(VALU_DEP_1)
	v_add_f32_e32 v183, v0, v1
	v_add_f32_e32 v0, v153, v157
	v_fma_f32 v185, -0.5, v0, v159
	s_delay_alu instid0(VALU_DEP_1) | instskip(NEXT) | instid1(VALU_DEP_1)
	v_dual_add_f32 v0, v154, v158 :: v_dual_fmamk_f32 v1, v199, 0x3f737871, v185
	v_fma_f32 v187, -0.5, v0, v160
	v_fmac_f32_e32 v185, 0xbf737871, v199
	s_delay_alu instid0(VALU_DEP_3) | instskip(NEXT) | instid1(VALU_DEP_3)
	v_fmac_f32_e32 v1, 0x3f167918, v200
	v_fmamk_f32 v0, v192, 0xbf737871, v187
	s_delay_alu instid0(VALU_DEP_2) | instskip(NEXT) | instid1(VALU_DEP_2)
	v_fmac_f32_e32 v1, 0x3e9e377a, v182
	v_fmac_f32_e32 v0, 0xbf167918, v196
	s_delay_alu instid0(VALU_DEP_2) | instskip(NEXT) | instid1(VALU_DEP_2)
	v_mul_f32_e32 v202, 0xbf167918, v1
	v_fmac_f32_e32 v0, 0x3e9e377a, v183
	s_delay_alu instid0(VALU_DEP_1) | instskip(NEXT) | instid1(VALU_DEP_3)
	v_mul_f32_e32 v201, 0x3f167918, v0
	v_fmac_f32_e32 v202, 0x3f4f1bbd, v0
	v_add_f32_e32 v0, v170, v29
	s_delay_alu instid0(VALU_DEP_3) | instskip(SKIP_1) | instid1(VALU_DEP_3)
	v_fmac_f32_e32 v201, 0x3f4f1bbd, v1
	v_sub_f32_e32 v1, v29, v26
	v_fma_f32 v203, -0.5, v0, v140
	v_add_f32_e32 v0, v169, v171
	v_fma_f32 v140, -0.5, v2, v140
	s_delay_alu instid0(VALU_DEP_2) | instskip(NEXT) | instid1(VALU_DEP_1)
	v_fma_f32 v207, -0.5, v0, v141
	v_dual_add_f32 v0, v151, v155 :: v_dual_fmamk_f32 v209, v208, 0xbf737871, v207
	s_delay_alu instid0(VALU_DEP_1) | instskip(SKIP_2) | instid1(VALU_DEP_3)
	v_fma_f32 v211, -0.5, v0, v136
	v_add_f32_e32 v0, v152, v156
	v_add_f32_e32 v20, v184, v190
	v_fmamk_f32 v213, v212, 0x3f737871, v211
	s_delay_alu instid0(VALU_DEP_3) | instskip(SKIP_1) | instid1(VALU_DEP_3)
	v_fma_f32 v218, -0.5, v0, v137
	v_sub_f32_e32 v0, v170, v168
	v_dual_fmac_f32 v164, -0.5, v20 :: v_dual_fmac_f32 v213, 0x3f167918, v214
	s_delay_alu instid0(VALU_DEP_2) | instskip(SKIP_4) | instid1(VALU_DEP_4)
	v_add_f32_e32 v26, v0, v1
	v_add_f32_e32 v0, v167, v8
	v_sub_f32_e32 v1, v171, v8
	v_add_f32_e32 v8, v24, v12
	v_sub_f32_e32 v12, v16, v12
	v_dual_sub_f32 v24, v188, v190 :: v_dual_fmac_f32 v141, -0.5, v0
	s_delay_alu instid0(VALU_DEP_3) | instskip(NEXT) | instid1(VALU_DEP_3)
	v_dual_sub_f32 v0, v169, v167 :: v_dual_fmac_f32 v163, -0.5, v8
	v_add_f32_e32 v8, v3, v12
	v_fmac_f32_e32 v213, 0x3e9e377a, v180
	v_add_nc_u32_e32 v188, 0x1400, v247
	s_delay_alu instid0(VALU_DEP_4) | instskip(SKIP_1) | instid1(VALU_DEP_2)
	v_dual_add_f32 v20, v0, v1 :: v_dual_fmamk_f32 v1, v27, 0xbf737871, v163
	v_dual_fmac_f32 v163, 0x3f737871, v27 :: v_dual_fmamk_f32 v0, v23, 0x3f737871, v164
	v_fmac_f32_e32 v1, 0x3f167918, v25
	s_delay_alu instid0(VALU_DEP_2) | instskip(NEXT) | instid1(VALU_DEP_2)
	v_fmac_f32_e32 v163, 0xbf167918, v25
	v_fmac_f32_e32 v1, 0x3e9e377a, v8
	s_delay_alu instid0(VALU_DEP_2)
	v_fmac_f32_e32 v163, 0x3e9e377a, v8
	v_fmamk_f32 v167, v206, 0xbf737871, v140
	v_dual_fmac_f32 v21, 0x3f737871, v22 :: v_dual_sub_f32 v16, v186, v184
	v_fmac_f32_e32 v0, 0xbf167918, v22
	v_fmac_f32_e32 v140, 0x3f737871, v206
	v_mul_f32_e32 v8, 0xbe9e377a, v163
	s_delay_alu instid0(VALU_DEP_4) | instskip(SKIP_1) | instid1(VALU_DEP_2)
	v_dual_fmac_f32 v21, 0x3f167918, v23 :: v_dual_add_f32 v12, v16, v24
	v_mul_f32_e32 v24, 0xbf737871, v1
	v_fmac_f32_e32 v0, 0x3e9e377a, v12
	s_delay_alu instid0(VALU_DEP_1) | instskip(NEXT) | instid1(VALU_DEP_3)
	v_mul_f32_e32 v16, 0x3f737871, v0
	v_fmac_f32_e32 v24, 0x3e9e377a, v0
	v_sub_f32_e32 v0, v151, v150
	s_delay_alu instid0(VALU_DEP_3) | instskip(SKIP_1) | instid1(VALU_DEP_1)
	v_fmac_f32_e32 v16, 0x3e9e377a, v1
	v_sub_f32_e32 v1, v155, v161
	v_dual_add_f32 v29, v0, v1 :: v_dual_add_f32 v0, v6, v162
	v_sub_f32_e32 v1, v156, v162
	v_add_f32_e32 v139, v10, v13
	s_delay_alu instid0(VALU_DEP_3)
	v_dual_fmac_f32 v137, -0.5, v0 :: v_dual_sub_f32 v0, v152, v6
	ds_store_2addr_b64 v247, v[144:145], v[138:139] offset1:100
	v_fmamk_f32 v171, v5, 0x3f737871, v137
	v_fmac_f32_e32 v137, 0xbf737871, v5
	v_fmamk_f32 v205, v204, 0x3f737871, v203
	v_dual_add_f32 v6, v0, v1 :: v_dual_fmac_f32 v203, 0xbf737871, v204
	v_fmamk_f32 v31, v4, 0xbf737871, v218
	s_delay_alu instid0(VALU_DEP_4) | instskip(NEXT) | instid1(VALU_DEP_4)
	v_fmac_f32_e32 v137, 0x3f167918, v4
	v_dual_fmac_f32 v205, 0x3f167918, v206 :: v_dual_add_f32 v144, v213, v201
	s_delay_alu instid0(VALU_DEP_4) | instskip(NEXT) | instid1(VALU_DEP_4)
	v_fmac_f32_e32 v203, 0xbf167918, v206
	v_fmac_f32_e32 v31, 0xbf167918, v5
	s_delay_alu instid0(VALU_DEP_4) | instskip(SKIP_2) | instid1(VALU_DEP_4)
	v_fmac_f32_e32 v137, 0x3e9e377a, v6
	v_fmac_f32_e32 v209, 0xbf167918, v210
	v_dual_fmac_f32 v205, 0x3e9e377a, v14 :: v_dual_add_f32 v0, v28, v165
	v_fmac_f32_e32 v31, 0x3e9e377a, v181
	v_sub_f32_e32 v1, v157, v165
	s_delay_alu instid0(VALU_DEP_3) | instskip(SKIP_1) | instid1(VALU_DEP_4)
	v_dual_fmac_f32 v209, 0x3e9e377a, v15 :: v_dual_add_f32 v138, v205, v146
	v_fmamk_f32 v169, v210, 0x3f737871, v141
	v_add_f32_e32 v145, v31, v202
	v_fmac_f32_e32 v141, 0xbf737871, v210
	s_delay_alu instid0(VALU_DEP_4)
	v_add_f32_e32 v139, v209, v147
	v_fmac_f32_e32 v171, 0xbf167918, v4
	v_fmac_f32_e32 v218, 0x3f737871, v4
	v_mul_f32_e32 v4, 0xbf4f1bbd, v19
	v_fmac_f32_e32 v141, 0x3f167918, v208
	ds_store_2addr_b64 v191, v[138:139], v[144:145] offset0:144 offset1:244
	v_add_f32_e32 v138, v159, v28
	v_fmac_f32_e32 v159, -0.5, v0
	v_dual_sub_f32 v0, v153, v28 :: v_dual_add_f32 v139, v160, v7
	v_fmac_f32_e32 v171, 0x3e9e377a, v6
	v_fmac_f32_e32 v21, 0x3e9e377a, v18
	;; [unrolled: 1-line block ×3, first 2 shown]
	s_delay_alu instid0(VALU_DEP_4)
	v_add_f32_e32 v28, v0, v1
	v_add_f32_e32 v0, v7, v166
	v_sub_f32_e32 v1, v158, v166
	v_mul_f32_e32 v5, 0xbf4f1bbd, v21
	v_fmac_f32_e32 v187, 0x3f737871, v192
	v_fmac_f32_e32 v164, 0xbf737871, v23
	v_fmac_f32_e32 v160, -0.5, v0
	v_sub_f32_e32 v0, v154, v7
	v_fmac_f32_e32 v5, 0xbf167918, v19
	v_mov_b32_e32 v19, v143
	v_dual_fmac_f32 v187, 0x3f167918, v196 :: v_dual_fmac_f32 v164, 0x3f167918, v22
	s_delay_alu instid0(VALU_DEP_4) | instskip(SKIP_4) | instid1(VALU_DEP_4)
	v_add_f32_e32 v7, v0, v1
	v_fmamk_f32 v0, v196, 0x3f737871, v160
	v_dual_fmamk_f32 v1, v200, 0xbf737871, v159 :: v_dual_fmac_f32 v160, 0xbf737871, v196
	v_fmac_f32_e32 v159, 0x3f737871, v200
	v_fmac_f32_e32 v169, 0xbf167918, v208
	;; [unrolled: 1-line block ×3, first 2 shown]
	s_delay_alu instid0(VALU_DEP_4) | instskip(NEXT) | instid1(VALU_DEP_4)
	v_dual_fmac_f32 v1, 0x3f167918, v199 :: v_dual_fmac_f32 v160, 0x3f167918, v192
	v_fmac_f32_e32 v159, 0xbf167918, v199
	s_delay_alu instid0(VALU_DEP_3) | instskip(NEXT) | instid1(VALU_DEP_3)
	v_dual_fmac_f32 v169, 0x3e9e377a, v20 :: v_dual_fmac_f32 v0, 0x3e9e377a, v7
	v_dual_fmac_f32 v1, 0x3e9e377a, v28 :: v_dual_fmac_f32 v160, 0x3e9e377a, v7
	s_delay_alu instid0(VALU_DEP_3) | instskip(SKIP_2) | instid1(VALU_DEP_4)
	v_fmac_f32_e32 v159, 0x3e9e377a, v28
	v_fmac_f32_e32 v207, 0x3f737871, v208
	;; [unrolled: 1-line block ×3, first 2 shown]
	v_mul_f32_e32 v145, 0xbf737871, v1
	v_mul_f32_e32 v7, 0xbe9e377a, v160
	v_fmac_f32_e32 v187, 0x3e9e377a, v183
	v_fmac_f32_e32 v207, 0x3f167918, v210
	;; [unrolled: 1-line block ×4, first 2 shown]
	v_mul_f32_e32 v144, 0x3f737871, v0
	v_dual_fmac_f32 v7, 0xbf737871, v159 :: v_dual_add_f32 v0, v150, v161
	v_dual_fmac_f32 v164, 0x3e9e377a, v12 :: v_dual_fmac_f32 v207, 0x3e9e377a, v15
	v_mul_f32_e32 v15, 0xbf4f1bbd, v187
	v_fmac_f32_e32 v167, 0x3f167918, v204
	s_delay_alu instid0(VALU_DEP_4) | instskip(NEXT) | instid1(VALU_DEP_4)
	v_fma_f32 v168, -0.5, v0, v136
	v_mul_f32_e32 v12, 0xbe9e377a, v164
	v_fmac_f32_e32 v211, 0xbf737871, v212
	v_fmac_f32_e32 v218, 0x3e9e377a, v181
	;; [unrolled: 1-line block ×3, first 2 shown]
	v_fmamk_f32 v170, v214, 0xbf737871, v168
	v_fmac_f32_e32 v168, 0x3f737871, v214
	v_fmac_f32_e32 v167, 0x3e9e377a, v26
	;; [unrolled: 1-line block ×8, first 2 shown]
	v_mul_f32_e32 v6, 0xbe9e377a, v159
	v_fmac_f32_e32 v170, 0x3e9e377a, v29
	v_fmac_f32_e32 v211, 0xbf167918, v214
	v_add_f32_e32 v1, v169, v24
	v_dual_add_f32 v3, v171, v145 :: v_dual_fmac_f32 v140, 0x3e9e377a, v26
	s_delay_alu instid0(VALU_DEP_4)
	v_add_f32_e32 v2, v170, v144
	v_fmac_f32_e32 v8, 0x3f737871, v164
	v_fmac_f32_e32 v168, 0x3e9e377a, v29
	;; [unrolled: 1-line block ×5, first 2 shown]
	v_add_f32_e32 v0, v167, v16
	v_mul_f32_e32 v14, 0xbf4f1bbd, v185
	v_fmac_f32_e32 v4, 0x3f167918, v21
	v_add_nc_u32_e32 v21, 0x400, v247
	v_add_nc_u32_e32 v22, 0x4c00, v247
	ds_store_2addr_b64 v188, v[0:1], v[2:3] offset0:60 offset1:160
	v_add_f32_e32 v0, v140, v8
	v_dual_add_f32 v1, v141, v12 :: v_dual_add_f32 v2, v168, v6
	v_add_f32_e32 v3, v137, v7
	v_fmac_f32_e32 v14, 0x3f167918, v187
	v_add_nc_u32_e32 v20, 0x4800, v247
	ds_store_2addr_b64 v142, v[0:1], v[2:3] offset0:104 offset1:204
	v_add_f32_e32 v0, v203, v4
	v_add_f32_e32 v1, v207, v5
	v_dual_add_f32 v2, v211, v14 :: v_dual_add_f32 v3, v218, v15
	ds_store_2addr_b64 v250, v[0:1], v[2:3] offset0:20 offset1:120
	v_add_f32_e32 v2, v136, v150
	v_dual_sub_f32 v0, v9, v11 :: v_dual_sub_f32 v1, v10, v13
	v_add_f32_e32 v3, v30, v152
	v_add_f32_e32 v9, v138, v153
	s_delay_alu instid0(VALU_DEP_4) | instskip(SKIP_1) | instid1(VALU_DEP_4)
	v_add_f32_e32 v2, v2, v151
	v_add_f32_e32 v10, v139, v154
	;; [unrolled: 1-line block ×3, first 2 shown]
	s_delay_alu instid0(VALU_DEP_3) | instskip(NEXT) | instid1(VALU_DEP_3)
	v_dual_add_f32 v9, v9, v157 :: v_dual_add_f32 v2, v2, v155
	v_add_f32_e32 v10, v10, v158
	s_delay_alu instid0(VALU_DEP_3) | instskip(NEXT) | instid1(VALU_DEP_3)
	v_add_f32_e32 v13, v3, v162
	v_add_f32_e32 v9, v9, v165
	s_delay_alu instid0(VALU_DEP_4) | instskip(NEXT) | instid1(VALU_DEP_4)
	v_add_f32_e32 v11, v2, v161
	v_add_f32_e32 v10, v10, v166
	s_delay_alu instid0(VALU_DEP_1)
	v_dual_sub_f32 v2, v11, v9 :: v_dual_sub_f32 v3, v13, v10
	ds_store_2addr_b64 v217, v[0:1], v[2:3] offset0:64 offset1:164
	v_sub_f32_e32 v0, v205, v146
	v_sub_f32_e32 v1, v209, v147
	v_dual_sub_f32 v2, v213, v201 :: v_dual_sub_f32 v3, v31, v202
	v_mov_b32_e32 v31, v217
	ds_store_2addr_b64 v143, v[0:1], v[2:3] offset0:108 offset1:208
	v_sub_f32_e32 v0, v167, v16
	v_sub_f32_e32 v1, v169, v24
	v_dual_sub_f32 v2, v170, v144 :: v_dual_sub_f32 v3, v171, v145
	v_add_nc_u32_e32 v16, 0x1000, v247
	ds_store_2addr_b64 v195, v[0:1], v[2:3] offset0:152 offset1:252
	v_sub_f32_e32 v1, v141, v12
	v_dual_sub_f32 v3, v137, v7 :: v_dual_sub_f32 v0, v140, v8
	v_sub_f32_e32 v2, v168, v6
	v_add_co_u32 v6, vcc_lo, 0x5dc0, v148
	v_add_co_ci_u32_e32 v7, vcc_lo, 0, v149, vcc_lo
	ds_store_2addr_b64 v22, v[0:1], v[2:3] offset0:68 offset1:168
	v_sub_f32_e32 v0, v203, v4
	v_sub_f32_e32 v1, v207, v5
	v_dual_sub_f32 v2, v211, v14 :: v_dual_sub_f32 v3, v218, v15
	v_add_nc_u32_e32 v15, 0x5000, v247
	v_mov_b32_e32 v207, v195
	ds_store_2addr_b64 v189, v[0:1], v[2:3] offset0:112 offset1:212
	v_dual_add_f32 v0, v11, v9 :: v_dual_add_f32 v1, v13, v10
	ds_store_b64 v247, v[0:1] offset:1600
	s_waitcnt lgkmcnt(0)
	s_barrier
	buffer_gl0_inv
	s_clause 0x2
	global_load_b64 v[4:5], v[245:246], off offset:3520
	global_load_b64 v[8:9], v[6:7], off offset:800
	;; [unrolled: 1-line block ×3, first 2 shown]
	ds_load_2addr_b64 v[0:3], v247 offset1:100
	v_dual_mov_b32 v26, v142 :: v_dual_add_nc_u32 v245, 0x1800, v247
	s_waitcnt vmcnt(2) lgkmcnt(0)
	v_mul_f32_e32 v12, v1, v5
	v_mul_f32_e32 v137, v0, v5
	s_waitcnt vmcnt(1)
	v_mul_f32_e32 v5, v2, v9
	s_delay_alu instid0(VALU_DEP_3) | instskip(NEXT) | instid1(VALU_DEP_3)
	v_fma_f32 v136, v0, v4, -v12
	v_dual_mul_f32 v0, v3, v9 :: v_dual_fmac_f32 v137, v1, v4
	s_delay_alu instid0(VALU_DEP_3) | instskip(NEXT) | instid1(VALU_DEP_2)
	v_fmac_f32_e32 v5, v3, v8
	v_fma_f32 v4, v2, v8, -v0
	v_add_co_u32 v8, vcc_lo, 0x7000, v148
	v_add_co_ci_u32_e32 v9, vcc_lo, 0, v149, vcc_lo
	ds_store_b64 v247, v[136:137]
	s_clause 0x2
	global_load_b64 v[136:137], v[8:9], off offset:128
	global_load_b64 v[138:139], v[8:9], off offset:928
	global_load_b64 v[140:141], v[6:7], off offset:4000
	ds_load_2addr_b64 v[0:3], v16 offset0:88 offset1:188
	s_waitcnt vmcnt(2) lgkmcnt(0)
	v_mul_f32_e32 v12, v1, v137
	v_mul_f32_e32 v143, v0, v137
	s_waitcnt vmcnt(1)
	v_mul_f32_e32 v137, v2, v139
	s_delay_alu instid0(VALU_DEP_3) | instskip(NEXT) | instid1(VALU_DEP_3)
	v_fma_f32 v142, v0, v136, -v12
	v_dual_mul_f32 v0, v3, v139 :: v_dual_fmac_f32 v143, v1, v136
	s_delay_alu instid0(VALU_DEP_3) | instskip(NEXT) | instid1(VALU_DEP_2)
	v_fmac_f32_e32 v137, v3, v138
	v_fma_f32 v136, v2, v138, -v0
	v_add_co_u32 v138, vcc_lo, 0x8000, v148
	v_add_co_ci_u32_e32 v139, vcc_lo, 0, v149, vcc_lo
	s_clause 0x2
	global_load_b64 v[144:145], v[138:139], off offset:832
	global_load_b64 v[146:147], v[138:139], off offset:1632
	global_load_b64 v[150:151], v[138:139], off offset:2432
	ds_load_2addr_b64 v[0:3], v251 offset0:48 offset1:148
	s_waitcnt vmcnt(2) lgkmcnt(0)
	v_mul_f32_e32 v12, v1, v145
	v_mul_f32_e32 v153, v0, v145
	s_waitcnt vmcnt(1)
	v_mul_f32_e32 v145, v2, v147
	s_delay_alu instid0(VALU_DEP_3) | instskip(NEXT) | instid1(VALU_DEP_3)
	v_fma_f32 v152, v0, v144, -v12
	v_dual_mul_f32 v0, v3, v147 :: v_dual_fmac_f32 v153, v1, v144
	s_delay_alu instid0(VALU_DEP_3) | instskip(NEXT) | instid1(VALU_DEP_2)
	v_fmac_f32_e32 v145, v3, v146
	v_fma_f32 v144, v2, v146, -v0
	v_add_co_u32 v146, vcc_lo, 0x9000, v148
	v_add_co_ci_u32_e32 v147, vcc_lo, 0, v149, vcc_lo
	;; [unrolled: 18-line block ×3, first 2 shown]
	s_clause 0x2
	global_load_b64 v[162:163], v[156:157], off offset:2240
	global_load_b64 v[164:165], v[156:157], off offset:3040
	;; [unrolled: 1-line block ×3, first 2 shown]
	ds_load_2addr_b64 v[0:3], v20 offset0:96 offset1:196
	v_add_co_u32 v148, vcc_lo, 0xb000, v148
	v_add_co_ci_u32_e32 v149, vcc_lo, 0, v149, vcc_lo
	s_waitcnt vmcnt(2) lgkmcnt(0)
	v_mul_f32_e32 v12, v1, v163
	v_mul_f32_e32 v169, v0, v163
	s_waitcnt vmcnt(1)
	v_mul_f32_e32 v163, v2, v165
	s_delay_alu instid0(VALU_DEP_3) | instskip(NEXT) | instid1(VALU_DEP_3)
	v_fma_f32 v168, v0, v162, -v12
	v_dual_mul_f32 v0, v3, v165 :: v_dual_fmac_f32 v169, v1, v162
	s_delay_alu instid0(VALU_DEP_3) | instskip(NEXT) | instid1(VALU_DEP_2)
	v_fmac_f32_e32 v163, v3, v164
	v_fma_f32 v162, v2, v164, -v0
	s_clause 0x1
	global_load_b64 v[164:165], v[6:7], off offset:2400
	global_load_b64 v[6:7], v[6:7], off offset:3200
	ds_load_2addr_b64 v[0:3], v21 offset0:72 offset1:172
	s_waitcnt vmcnt(1) lgkmcnt(0)
	v_mul_f32_e32 v12, v3, v165
	v_mul_f32_e32 v171, v2, v165
	;; [unrolled: 1-line block ×3, first 2 shown]
	s_delay_alu instid0(VALU_DEP_3) | instskip(NEXT) | instid1(VALU_DEP_3)
	v_fma_f32 v170, v2, v164, -v12
	v_dual_mul_f32 v2, v1, v11 :: v_dual_fmac_f32 v171, v3, v164
	s_delay_alu instid0(VALU_DEP_3) | instskip(NEXT) | instid1(VALU_DEP_2)
	v_fmac_f32_e32 v165, v1, v10
	v_fma_f32 v164, v0, v10, -v2
	ds_load_2addr_b64 v[0:3], v191 offset0:144 offset1:244
	s_waitcnt vmcnt(0) lgkmcnt(0)
	v_mul_f32_e32 v10, v1, v7
	v_mul_f32_e32 v11, v0, v7
	;; [unrolled: 1-line block ×3, first 2 shown]
	s_delay_alu instid0(VALU_DEP_3) | instskip(NEXT) | instid1(VALU_DEP_3)
	v_fma_f32 v10, v0, v6, -v10
	v_dual_mul_f32 v0, v3, v141 :: v_dual_fmac_f32 v11, v1, v6
	s_delay_alu instid0(VALU_DEP_3) | instskip(NEXT) | instid1(VALU_DEP_2)
	v_fmac_f32_e32 v7, v3, v140
	v_fma_f32 v6, v2, v140, -v0
	s_clause 0x3
	global_load_b64 v[140:141], v[8:9], off offset:2528
	global_load_b64 v[180:181], v[8:9], off offset:3328
	;; [unrolled: 1-line block ×4, first 2 shown]
	ds_load_2addr_b64 v[0:3], v245 offset0:32 offset1:132
	s_waitcnt vmcnt(3) lgkmcnt(0)
	v_mul_f32_e32 v12, v3, v141
	v_mul_f32_e32 v185, v2, v141
	s_waitcnt vmcnt(0)
	v_mul_f32_e32 v141, v0, v9
	s_delay_alu instid0(VALU_DEP_3) | instskip(NEXT) | instid1(VALU_DEP_3)
	v_fma_f32 v184, v2, v140, -v12
	v_dual_mul_f32 v2, v1, v9 :: v_dual_fmac_f32 v185, v3, v140
	s_delay_alu instid0(VALU_DEP_3) | instskip(NEXT) | instid1(VALU_DEP_2)
	v_fmac_f32_e32 v141, v1, v8
	v_fma_f32 v140, v0, v8, -v2
	ds_load_2addr_b64 v[0:3], v26 offset0:104 offset1:204
	s_waitcnt lgkmcnt(0)
	v_mul_f32_e32 v8, v1, v181
	v_mul_f32_e32 v9, v0, v181
	v_mul_f32_e32 v181, v2, v183
	s_delay_alu instid0(VALU_DEP_3) | instskip(NEXT) | instid1(VALU_DEP_3)
	v_fma_f32 v8, v0, v180, -v8
	v_dual_mul_f32 v0, v3, v183 :: v_dual_fmac_f32 v9, v1, v180
	s_delay_alu instid0(VALU_DEP_3) | instskip(NEXT) | instid1(VALU_DEP_2)
	v_fmac_f32_e32 v181, v3, v182
	v_fma_f32 v180, v2, v182, -v0
	s_clause 0x1
	global_load_b64 v[182:183], v[138:139], off offset:3232
	global_load_b64 v[138:139], v[138:139], off offset:4032
	ds_load_2addr_b64 v[0:3], v250 offset0:120 offset1:220
	s_waitcnt vmcnt(1) lgkmcnt(0)
	v_mul_f32_e32 v12, v3, v183
	v_mul_f32_e32 v187, v2, v183
	v_mul_f32_e32 v183, v0, v151
	s_delay_alu instid0(VALU_DEP_3) | instskip(NEXT) | instid1(VALU_DEP_3)
	v_fma_f32 v186, v2, v182, -v12
	v_dual_mul_f32 v2, v1, v151 :: v_dual_fmac_f32 v187, v3, v182
	s_delay_alu instid0(VALU_DEP_3) | instskip(NEXT) | instid1(VALU_DEP_2)
	v_fmac_f32_e32 v183, v1, v150
	v_fma_f32 v182, v0, v150, -v2
	ds_load_2addr_b64 v[0:3], v217 offset0:64 offset1:164
	s_waitcnt vmcnt(0) lgkmcnt(0)
	v_dual_mov_b32 v217, v19 :: v_dual_mul_f32 v12, v1, v139
	v_mul_f32_e32 v151, v0, v139
	v_mul_f32_e32 v139, v2, v159
	s_delay_alu instid0(VALU_DEP_3) | instskip(NEXT) | instid1(VALU_DEP_3)
	v_fma_f32 v150, v0, v138, -v12
	v_dual_mul_f32 v0, v3, v159 :: v_dual_fmac_f32 v151, v1, v138
	s_delay_alu instid0(VALU_DEP_3) | instskip(NEXT) | instid1(VALU_DEP_2)
	v_fmac_f32_e32 v139, v3, v158
	v_fma_f32 v138, v2, v158, -v0
	s_clause 0x3
	global_load_b64 v[158:159], v[156:157], off offset:640
	global_load_b64 v[156:157], v[156:157], off offset:1440
	;; [unrolled: 1-line block ×4, first 2 shown]
	ds_load_2addr_b64 v[0:3], v17 offset0:80 offset1:180
	s_waitcnt vmcnt(1) lgkmcnt(0)
	v_mul_f32_e32 v12, v3, v200
	v_mul_f32_e32 v202, v2, v200
	s_waitcnt vmcnt(0)
	v_mul_f32_e32 v200, v0, v147
	s_delay_alu instid0(VALU_DEP_3) | instskip(SKIP_2) | instid1(VALU_DEP_4)
	v_fma_f32 v201, v2, v199, -v12
	v_mul_f32_e32 v2, v1, v147
	v_fmac_f32_e32 v202, v3, v199
	v_fmac_f32_e32 v200, v1, v146
	s_delay_alu instid0(VALU_DEP_3)
	v_fma_f32 v199, v0, v146, -v2
	ds_load_2addr_b64 v[0:3], v195 offset0:152 offset1:252
	s_waitcnt lgkmcnt(0)
	v_mul_f32_e32 v12, v1, v159
	v_mul_f32_e32 v147, v0, v159
	;; [unrolled: 1-line block ×3, first 2 shown]
	s_delay_alu instid0(VALU_DEP_3) | instskip(NEXT) | instid1(VALU_DEP_3)
	v_fma_f32 v146, v0, v158, -v12
	v_dual_mul_f32 v0, v3, v157 :: v_dual_fmac_f32 v147, v1, v158
	s_delay_alu instid0(VALU_DEP_3) | instskip(NEXT) | instid1(VALU_DEP_2)
	v_fmac_f32_e32 v159, v3, v156
	v_fma_f32 v158, v2, v156, -v0
	global_load_b64 v[156:157], v[148:149], off offset:544
	ds_load_2addr_b64 v[0:3], v15 offset0:40 offset1:140
	s_waitcnt vmcnt(0) lgkmcnt(0)
	v_mul_f32_e32 v12, v3, v157
	v_dual_mul_f32 v204, v2, v157 :: v_dual_mul_f32 v157, v0, v167
	s_delay_alu instid0(VALU_DEP_2) | instskip(SKIP_1) | instid1(VALU_DEP_3)
	v_fma_f32 v203, v2, v156, -v12
	v_mul_f32_e32 v2, v1, v167
	v_dual_fmac_f32 v204, v3, v156 :: v_dual_fmac_f32 v157, v1, v166
	s_delay_alu instid0(VALU_DEP_2)
	v_fma_f32 v156, v0, v166, -v2
	s_clause 0x1
	global_load_b64 v[166:167], v[148:149], off offset:1344
	global_load_b64 v[148:149], v[148:149], off offset:2144
	ds_load_2addr_b64 v[0:3], v189 offset0:112 offset1:212
	s_waitcnt vmcnt(1) lgkmcnt(0)
	v_mul_f32_e32 v12, v1, v167
	v_mul_f32_e32 v206, v0, v167
	s_delay_alu instid0(VALU_DEP_2) | instskip(SKIP_2) | instid1(VALU_DEP_3)
	v_fma_f32 v205, v0, v166, -v12
	s_waitcnt vmcnt(0)
	v_mul_f32_e32 v0, v3, v149
	v_dual_fmac_f32 v206, v1, v166 :: v_dual_mul_f32 v1, v2, v149
	s_delay_alu instid0(VALU_DEP_2) | instskip(NEXT) | instid1(VALU_DEP_2)
	v_fma_f32 v0, v2, v148, -v0
	v_dual_fmac_f32 v1, v3, v148 :: v_dual_add_nc_u32 v2, 0x2c00, v247
	ds_store_2addr_b64 v2, v[186:187], v[150:151] offset0:92 offset1:192
	v_add_nc_u32_e32 v2, 0xc00, v247
	ds_store_2addr_b64 v2, v[6:7], v[142:143] offset0:116 offset1:216
	v_add_nc_u32_e32 v2, 0x2000, v247
	;; [unrolled: 2-line block ×4, first 2 shown]
	ds_store_2addr_b64 v2, v[158:159], v[168:169] offset0:124 offset1:224
	ds_store_2addr_b64 v191, v[170:171], v[10:11] offset0:44 offset1:144
	;; [unrolled: 1-line block ×10, first 2 shown]
	ds_store_b64 v247, v[0:1] offset:23200
	s_waitcnt lgkmcnt(0)
	s_barrier
	buffer_gl0_inv
	ds_load_2addr_b64 v[156:159], v16 offset0:88 offset1:188
	ds_load_2addr_b64 v[160:163], v251 offset0:48 offset1:148
	;; [unrolled: 1-line block ×8, first 2 shown]
	v_mov_b32_e32 v30, v26
	ds_load_2addr_b64 v[136:139], v21 offset0:72 offset1:172
	v_mov_b32_e32 v195, v16
	ds_load_2addr_b64 v[203:206], v31 offset0:64 offset1:164
	ds_load_2addr_b64 v[180:183], v191 offset0:144 offset1:244
	s_waitcnt lgkmcnt(8)
	v_dual_sub_f32 v13, v161, v169 :: v_dual_sub_f32 v0, v156, v160
	s_waitcnt lgkmcnt(4)
	v_dual_sub_f32 v1, v164, v168 :: v_dual_sub_f32 v10, v147, v155
	;; [unrolled: 2-line block ×3, first 2 shown]
	v_sub_f32_e32 v15, v157, v165
	s_delay_alu instid0(VALU_DEP_3)
	v_add_f32_e32 v187, v0, v1
	v_sub_f32_e32 v0, v157, v161
	v_sub_f32_e32 v1, v165, v169
	v_dual_mov_b32 v218, v17 :: v_dual_sub_f32 v17, v160, v168
	v_sub_f32_e32 v19, v156, v164
	v_add_f32_e32 v7, v156, v164
	s_delay_alu instid0(VALU_DEP_4)
	v_dual_add_f32 v185, v0, v1 :: v_dual_sub_f32 v0, v142, v146
	v_sub_f32_e32 v1, v150, v154
	ds_load_2addr_b64 v[199:202], v30 offset0:104 offset1:204
	v_dual_sub_f32 v9, v155, v151 :: v_dual_add_f32 v188, v0, v1
	v_sub_f32_e32 v0, v143, v147
	v_sub_f32_e32 v1, v151, v155
	s_delay_alu instid0(VALU_DEP_1) | instskip(SKIP_2) | instid1(VALU_DEP_1)
	v_add_f32_e32 v190, v0, v1
	v_add_f32_e32 v0, v147, v155
	s_waitcnt lgkmcnt(3)
	v_fma_f32 v5, -0.5, v0, v139
	v_add_f32_e32 v0, v146, v154
	v_sub_f32_e32 v192, v146, v154
	s_delay_alu instid0(VALU_DEP_2) | instskip(NEXT) | instid1(VALU_DEP_4)
	v_fma_f32 v4, -0.5, v0, v138
	v_fmamk_f32 v0, v196, 0x3f737871, v5
	s_delay_alu instid0(VALU_DEP_2) | instskip(NEXT) | instid1(VALU_DEP_2)
	v_fmamk_f32 v1, v11, 0xbf737871, v4
	v_fmac_f32_e32 v0, 0x3f167918, v192
	v_fmac_f32_e32 v4, 0x3f737871, v11
	s_delay_alu instid0(VALU_DEP_3) | instskip(NEXT) | instid1(VALU_DEP_1)
	v_fmac_f32_e32 v1, 0xbf167918, v10
	v_dual_fmac_f32 v0, 0x3e9e377a, v190 :: v_dual_fmac_f32 v1, 0x3e9e377a, v188
	s_delay_alu instid0(VALU_DEP_1) | instskip(NEXT) | instid1(VALU_DEP_2)
	v_mul_f32_e32 v184, 0xbf167918, v0
	v_mul_f32_e32 v186, 0x3f167918, v1
	s_delay_alu instid0(VALU_DEP_2) | instskip(NEXT) | instid1(VALU_DEP_2)
	v_dual_fmac_f32 v184, 0x3f4f1bbd, v1 :: v_dual_sub_f32 v1, v168, v164
	v_fmac_f32_e32 v186, 0x3f4f1bbd, v0
	v_sub_f32_e32 v0, v160, v156
	s_delay_alu instid0(VALU_DEP_1) | instskip(SKIP_4) | instid1(VALU_DEP_2)
	v_add_f32_e32 v6, v0, v1
	ds_load_2addr_b64 v[0:3], v247 offset1:100
	s_waitcnt lgkmcnt(0)
	v_fma_f32 v12, -0.5, v7, v0
	v_sub_f32_e32 v7, v169, v165
	v_fmamk_f32 v14, v13, 0x3f737871, v12
	v_fmac_f32_e32 v12, 0xbf737871, v13
	s_delay_alu instid0(VALU_DEP_2) | instskip(NEXT) | instid1(VALU_DEP_2)
	v_fmac_f32_e32 v14, 0xbf167918, v15
	v_fmac_f32_e32 v12, 0x3f167918, v15
	s_delay_alu instid0(VALU_DEP_2) | instskip(NEXT) | instid1(VALU_DEP_2)
	v_fmac_f32_e32 v14, 0x3e9e377a, v6
	v_fmac_f32_e32 v12, 0x3e9e377a, v6
	v_sub_f32_e32 v6, v161, v157
	s_delay_alu instid0(VALU_DEP_1) | instskip(NEXT) | instid1(VALU_DEP_1)
	v_dual_add_f32 v6, v6, v7 :: v_dual_add_f32 v7, v157, v165
	v_fma_f32 v16, -0.5, v7, v1
	s_delay_alu instid0(VALU_DEP_1) | instskip(SKIP_1) | instid1(VALU_DEP_2)
	v_dual_sub_f32 v7, v154, v150 :: v_dual_fmamk_f32 v18, v17, 0xbf737871, v16
	v_fmac_f32_e32 v16, 0x3f737871, v17
	v_fmac_f32_e32 v18, 0x3f167918, v19
	s_delay_alu instid0(VALU_DEP_2) | instskip(NEXT) | instid1(VALU_DEP_2)
	v_fmac_f32_e32 v16, 0xbf167918, v19
	v_fmac_f32_e32 v18, 0x3e9e377a, v6
	s_delay_alu instid0(VALU_DEP_2) | instskip(SKIP_1) | instid1(VALU_DEP_1)
	v_fmac_f32_e32 v16, 0x3e9e377a, v6
	v_sub_f32_e32 v6, v146, v142
	v_add_f32_e32 v6, v6, v7
	v_add_f32_e32 v7, v142, v150
	s_delay_alu instid0(VALU_DEP_1) | instskip(NEXT) | instid1(VALU_DEP_1)
	v_fma_f32 v7, -0.5, v7, v138
	v_fmamk_f32 v8, v10, 0x3f737871, v7
	v_fmac_f32_e32 v7, 0xbf737871, v10
	s_delay_alu instid0(VALU_DEP_2) | instskip(NEXT) | instid1(VALU_DEP_2)
	v_fmac_f32_e32 v8, 0xbf167918, v11
	v_fmac_f32_e32 v7, 0x3f167918, v11
	s_delay_alu instid0(VALU_DEP_2) | instskip(NEXT) | instid1(VALU_DEP_2)
	v_dual_add_f32 v11, v159, v167 :: v_dual_fmac_f32 v8, 0x3e9e377a, v6
	v_dual_fmac_f32 v7, 0x3e9e377a, v6 :: v_dual_sub_f32 v6, v147, v143
	s_delay_alu instid0(VALU_DEP_1) | instskip(NEXT) | instid1(VALU_DEP_1)
	v_dual_add_f32 v6, v6, v9 :: v_dual_add_f32 v9, v143, v151
	v_fma_f32 v9, -0.5, v9, v139
	s_delay_alu instid0(VALU_DEP_1) | instskip(SKIP_1) | instid1(VALU_DEP_2)
	v_fmamk_f32 v20, v192, 0xbf737871, v9
	v_fmac_f32_e32 v9, 0x3f737871, v192
	v_fmac_f32_e32 v20, 0x3f167918, v196
	s_delay_alu instid0(VALU_DEP_2) | instskip(NEXT) | instid1(VALU_DEP_2)
	v_fmac_f32_e32 v9, 0xbf167918, v196
	v_fmac_f32_e32 v20, 0x3e9e377a, v6
	s_delay_alu instid0(VALU_DEP_2) | instskip(SKIP_1) | instid1(VALU_DEP_3)
	v_dual_fmac_f32 v9, 0x3e9e377a, v6 :: v_dual_add_f32 v6, v0, v156
	v_dual_mov_b32 v246, v251 :: v_dual_mov_b32 v251, v21
	v_mul_f32_e32 v21, 0xbf737871, v20
	s_delay_alu instid0(VALU_DEP_3)
	v_dual_mul_f32 v23, 0xbe9e377a, v9 :: v_dual_add_f32 v6, v6, v160
	v_mul_f32_e32 v20, 0x3e9e377a, v20
	v_mul_f32_e32 v22, 0xbf737871, v9
	v_add_f32_e32 v9, v161, v169
	v_fmac_f32_e32 v21, 0x3e9e377a, v8
	v_add_f32_e32 v6, v6, v168
	v_fmac_f32_e32 v20, 0x3f737871, v8
	v_fmac_f32_e32 v22, 0xbe9e377a, v7
	;; [unrolled: 1-line block ×3, first 2 shown]
	v_add_f32_e32 v7, v138, v142
	v_add_f32_e32 v24, v6, v164
	;; [unrolled: 1-line block ×3, first 2 shown]
	v_mov_b32_e32 v164, v207
	ds_load_2addr_b64 v[207:210], v207 offset0:152 offset1:252
	ds_load_2addr_b64 v[211:214], v189 offset0:112 offset1:212
	v_add_f32_e32 v7, v7, v146
	s_waitcnt lgkmcnt(0)
	v_fma_f32 v0, -0.5, v6, v0
	v_add_f32_e32 v6, v1, v157
	v_fma_f32 v1, -0.5, v9, v1
	v_add_f32_e32 v7, v7, v154
	s_barrier
	v_fmamk_f32 v25, v15, 0xbf737871, v0
	v_fmac_f32_e32 v0, 0x3f737871, v15
	v_dual_fmamk_f32 v26, v19, 0x3f737871, v1 :: v_dual_sub_f32 v15, v158, v166
	v_add_f32_e32 v6, v6, v161
	s_delay_alu instid0(VALU_DEP_4) | instskip(NEXT) | instid1(VALU_DEP_4)
	v_fmac_f32_e32 v25, 0xbf167918, v13
	v_dual_fmac_f32 v0, 0x3f167918, v13 :: v_dual_sub_f32 v13, v162, v170
	v_add_f32_e32 v8, v139, v143
	s_delay_alu instid0(VALU_DEP_4) | instskip(SKIP_2) | instid1(VALU_DEP_4)
	v_add_f32_e32 v6, v6, v169
	v_dual_fmac_f32 v26, 0x3f167918, v17 :: v_dual_add_f32 v27, v7, v150
	v_fmac_f32_e32 v25, 0x3e9e377a, v187
	v_add_f32_e32 v8, v8, v147
	s_delay_alu instid0(VALU_DEP_4) | instskip(NEXT) | instid1(VALU_DEP_4)
	v_add_f32_e32 v28, v6, v165
	v_dual_fmac_f32 v26, 0x3e9e377a, v185 :: v_dual_mov_b32 v161, v31
	s_delay_alu instid0(VALU_DEP_3) | instskip(SKIP_1) | instid1(VALU_DEP_3)
	v_dual_fmac_f32 v5, 0xbf737871, v196 :: v_dual_add_f32 v8, v8, v155
	v_add_f32_e32 v154, v24, v27
	v_dual_add_f32 v156, v25, v184 :: v_dual_add_f32 v157, v26, v186
	s_delay_alu instid0(VALU_DEP_3) | instskip(NEXT) | instid1(VALU_DEP_4)
	v_fmac_f32_e32 v5, 0xbf167918, v192
	v_dual_add_f32 v29, v8, v151 :: v_dual_add_f32 v6, v14, v21
	v_dual_add_f32 v8, v12, v22 :: v_dual_add_f32 v7, v18, v20
	v_fmac_f32_e32 v1, 0xbf737871, v19
	s_delay_alu instid0(VALU_DEP_3)
	v_add_f32_e32 v155, v28, v29
	v_sub_f32_e32 v19, v171, v167
	v_add_f32_e32 v9, v16, v23
	buffer_gl0_inv
	ds_store_b128 v248, v[154:157]
	ds_store_b128 v248, v[6:9] offset:16
	v_dual_sub_f32 v157, v18, v20 :: v_dual_fmac_f32 v4, 0x3f167918, v10
	v_fmac_f32_e32 v5, 0x3e9e377a, v190
	v_fmac_f32_e32 v1, 0xbf167918, v17
	;; [unrolled: 1-line block ×3, first 2 shown]
	v_sub_f32_e32 v6, v24, v27
	v_fmac_f32_e32 v4, 0x3e9e377a, v188
	v_mul_f32_e32 v8, 0xbf167918, v5
	v_mul_f32_e32 v9, 0xbf4f1bbd, v5
	v_fmac_f32_e32 v1, 0x3e9e377a, v185
	v_dual_sub_f32 v7, v28, v29 :: v_dual_sub_f32 v154, v25, v184
	s_delay_alu instid0(VALU_DEP_4) | instskip(NEXT) | instid1(VALU_DEP_4)
	v_fmac_f32_e32 v8, 0xbf4f1bbd, v4
	v_dual_fmac_f32 v9, 0x3f167918, v4 :: v_dual_sub_f32 v156, v14, v21
	v_dual_sub_f32 v155, v26, v186 :: v_dual_sub_f32 v18, v167, v171
	s_delay_alu instid0(VALU_DEP_2)
	v_dual_add_f32 v4, v0, v8 :: v_dual_add_f32 v5, v1, v9
	ds_store_b128 v248, v[4:7] offset:32
	ds_store_b128 v248, v[154:157] offset:48
	scratch_load_b32 v154, off, off offset:316 ; 4-byte Folded Reload
	v_sub_f32_e32 v6, v0, v8
	v_sub_f32_e32 v5, v16, v23
	;; [unrolled: 1-line block ×3, first 2 shown]
	v_dual_sub_f32 v9, v163, v159 :: v_dual_sub_f32 v4, v12, v22
	v_sub_f32_e32 v8, v159, v163
	v_sub_f32_e32 v16, v166, v170
	;; [unrolled: 1-line block ×4, first 2 shown]
	ds_store_b128 v248, v[4:7] offset:64
	v_sub_f32_e32 v5, v158, v162
	v_add_f32_e32 v18, v8, v18
	v_dual_sub_f32 v8, v211, v207 :: v_dual_sub_f32 v27, v204, v208
	s_delay_alu instid0(VALU_DEP_3) | instskip(SKIP_4) | instid1(VALU_DEP_4)
	v_dual_sub_f32 v25, v203, v207 :: v_dual_add_f32 v16, v5, v16
	v_dual_sub_f32 v5, v199, v203 :: v_dual_sub_f32 v6, v162, v158
	v_add_f32_e32 v7, v163, v171
	v_sub_f32_e32 v17, v170, v166
	v_mov_b32_e32 v160, v30
	v_add_f32_e32 v20, v5, v8
	v_sub_f32_e32 v5, v200, v204
	v_dual_sub_f32 v8, v212, v208 :: v_dual_add_f32 v1, v3, v159
	s_delay_alu instid0(VALU_DEP_1) | instskip(SKIP_1) | instid1(VALU_DEP_3)
	v_add_f32_e32 v21, v5, v8
	v_add_f32_e32 v5, v204, v208
	;; [unrolled: 1-line block ×3, first 2 shown]
	s_delay_alu instid0(VALU_DEP_2) | instskip(SKIP_1) | instid1(VALU_DEP_3)
	v_fma_f32 v22, -0.5, v5, v181
	v_add_f32_e32 v5, v203, v207
	v_add_f32_e32 v1, v1, v171
	s_delay_alu instid0(VALU_DEP_2) | instskip(NEXT) | instid1(VALU_DEP_4)
	v_fma_f32 v23, -0.5, v5, v180
	v_dual_fmamk_f32 v5, v24, 0x3f737871, v22 :: v_dual_sub_f32 v12, v163, v171
	s_delay_alu instid0(VALU_DEP_3) | instskip(NEXT) | instid1(VALU_DEP_3)
	v_dual_fmac_f32 v22, 0xbf737871, v24 :: v_dual_add_f32 v1, v1, v167
	v_fmamk_f32 v8, v26, 0xbf737871, v23
	s_delay_alu instid0(VALU_DEP_3)
	v_fmac_f32_e32 v5, 0x3f167918, v25
	v_fmac_f32_e32 v23, 0x3f737871, v26
	v_add_f32_e32 v10, v158, v166
	v_fmac_f32_e32 v22, 0xbf167918, v25
	v_fmac_f32_e32 v8, 0xbf167918, v27
	;; [unrolled: 1-line block ×4, first 2 shown]
	v_fma_f32 v30, -0.5, v10, v2
	v_fmac_f32_e32 v22, 0x3e9e377a, v21
	v_fmac_f32_e32 v8, 0x3e9e377a, v20
	v_dual_mul_f32 v28, 0xbf167918, v5 :: v_dual_sub_f32 v21, v206, v210
	s_delay_alu instid0(VALU_DEP_4) | instskip(SKIP_1) | instid1(VALU_DEP_4)
	v_fmamk_f32 v31, v12, 0x3f737871, v30
	v_fmac_f32_e32 v30, 0xbf737871, v12
	v_mul_f32_e32 v29, 0x3f167918, v8
	s_delay_alu instid0(VALU_DEP_4) | instskip(SKIP_2) | instid1(VALU_DEP_4)
	v_fmac_f32_e32 v28, 0x3f4f1bbd, v8
	v_sub_f32_e32 v8, v208, v212
	v_fmac_f32_e32 v23, 0x3e9e377a, v20
	v_fmac_f32_e32 v29, 0x3f4f1bbd, v5
	v_add_f32_e32 v5, v6, v17
	v_fma_f32 v17, -0.5, v7, v3
	v_fmac_f32_e32 v3, -0.5, v11
	v_sub_f32_e32 v6, v207, v211
	s_delay_alu instid0(VALU_DEP_3) | instskip(SKIP_1) | instid1(VALU_DEP_2)
	v_fmamk_f32 v147, v15, 0x3f737871, v17
	v_fmac_f32_e32 v17, 0xbf737871, v15
	v_fmac_f32_e32 v147, 0x3f167918, v13
	s_delay_alu instid0(VALU_DEP_2) | instskip(SKIP_1) | instid1(VALU_DEP_3)
	v_dual_fmac_f32 v17, 0xbf167918, v13 :: v_dual_sub_f32 v14, v159, v167
	v_mov_b32_e32 v159, v218
	v_fmac_f32_e32 v147, 0x3e9e377a, v18
	s_delay_alu instid0(VALU_DEP_3) | instskip(NEXT) | instid1(VALU_DEP_4)
	v_fmac_f32_e32 v17, 0x3e9e377a, v18
	v_fmac_f32_e32 v31, 0xbf167918, v14
	;; [unrolled: 1-line block ×3, first 2 shown]
	s_delay_alu instid0(VALU_DEP_2) | instskip(NEXT) | instid1(VALU_DEP_2)
	v_fmac_f32_e32 v31, 0x3e9e377a, v5
	v_dual_fmac_f32 v30, 0x3e9e377a, v5 :: v_dual_add_f32 v5, v9, v19
	v_fmamk_f32 v19, v13, 0xbf737871, v3
	v_fmac_f32_e32 v3, 0x3f737871, v13
	v_mul_f32_e32 v13, 0xbf4f1bbd, v22
	s_delay_alu instid0(VALU_DEP_3) | instskip(NEXT) | instid1(VALU_DEP_3)
	v_fmac_f32_e32 v19, 0x3f167918, v15
	v_fmac_f32_e32 v3, 0xbf167918, v15
	s_delay_alu instid0(VALU_DEP_3) | instskip(SKIP_1) | instid1(VALU_DEP_4)
	v_fmac_f32_e32 v13, 0x3f167918, v23
	v_sub_f32_e32 v15, v152, v148
	v_fmac_f32_e32 v19, 0x3e9e377a, v5
	s_delay_alu instid0(VALU_DEP_4) | instskip(SKIP_1) | instid1(VALU_DEP_1)
	v_fmac_f32_e32 v3, 0x3e9e377a, v5
	v_sub_f32_e32 v5, v203, v199
	v_dual_add_f32 v5, v5, v6 :: v_dual_add_f32 v6, v199, v211
	s_delay_alu instid0(VALU_DEP_1) | instskip(NEXT) | instid1(VALU_DEP_1)
	v_fma_f32 v6, -0.5, v6, v180
	v_fmamk_f32 v7, v27, 0x3f737871, v6
	v_dual_fmac_f32 v6, 0xbf737871, v27 :: v_dual_sub_f32 v27, v206, v202
	s_delay_alu instid0(VALU_DEP_2) | instskip(NEXT) | instid1(VALU_DEP_2)
	v_fmac_f32_e32 v7, 0xbf167918, v26
	v_fmac_f32_e32 v6, 0x3f167918, v26
	s_delay_alu instid0(VALU_DEP_2) | instskip(NEXT) | instid1(VALU_DEP_2)
	v_dual_sub_f32 v26, v202, v206 :: v_dual_fmac_f32 v7, 0x3e9e377a, v5
	v_dual_fmac_f32 v6, 0x3e9e377a, v5 :: v_dual_sub_f32 v5, v204, v200
	s_delay_alu instid0(VALU_DEP_1) | instskip(SKIP_1) | instid1(VALU_DEP_1)
	v_add_f32_e32 v5, v5, v8
	v_add_f32_e32 v8, v200, v212
	v_fma_f32 v8, -0.5, v8, v181
	s_delay_alu instid0(VALU_DEP_1) | instskip(SKIP_2) | instid1(VALU_DEP_3)
	v_fmamk_f32 v9, v25, 0xbf737871, v8
	v_fmac_f32_e32 v8, 0x3f737871, v25
	v_sub_f32_e32 v25, v205, v209
	v_fmac_f32_e32 v9, 0x3f167918, v24
	s_delay_alu instid0(VALU_DEP_3) | instskip(NEXT) | instid1(VALU_DEP_2)
	v_fmac_f32_e32 v8, 0xbf167918, v24
	v_dual_add_f32 v24, v206, v210 :: v_dual_fmac_f32 v9, 0x3e9e377a, v5
	s_delay_alu instid0(VALU_DEP_2) | instskip(NEXT) | instid1(VALU_DEP_2)
	v_dual_fmac_f32 v8, 0x3e9e377a, v5 :: v_dual_add_f32 v5, v181, v200
	v_fma_f32 v24, -0.5, v24, v183
	v_mov_b32_e32 v155, v160
	s_delay_alu instid0(VALU_DEP_4) | instskip(NEXT) | instid1(VALU_DEP_4)
	v_mul_f32_e32 v139, 0x3e9e377a, v9
	v_dual_mul_f32 v138, 0xbf737871, v9 :: v_dual_add_f32 v5, v5, v204
	v_mul_f32_e32 v142, 0xbf737871, v8
	v_mul_f32_e32 v143, 0xbe9e377a, v8
	s_delay_alu instid0(VALU_DEP_4) | instskip(NEXT) | instid1(VALU_DEP_4)
	v_dual_fmac_f32 v139, 0x3f737871, v7 :: v_dual_add_f32 v4, v162, v170
	v_dual_add_f32 v5, v5, v208 :: v_dual_fmac_f32 v138, 0x3e9e377a, v7
	s_delay_alu instid0(VALU_DEP_4) | instskip(NEXT) | instid1(VALU_DEP_4)
	v_fmac_f32_e32 v142, 0xbe9e377a, v6
	v_fmac_f32_e32 v143, 0x3f737871, v6
	v_add_f32_e32 v7, v147, v29
	s_delay_alu instid0(VALU_DEP_4) | instskip(SKIP_2) | instid1(VALU_DEP_3)
	v_dual_add_f32 v151, v5, v212 :: v_dual_add_f32 v0, v2, v158
	v_fma_f32 v2, -0.5, v4, v2
	v_add_f32_e32 v4, v180, v199
	v_dual_add_f32 v8, v31, v138 :: v_dual_add_f32 v5, v1, v151
	s_delay_alu instid0(VALU_DEP_4) | instskip(NEXT) | instid1(VALU_DEP_4)
	v_add_f32_e32 v0, v0, v162
	v_fmamk_f32 v146, v14, 0xbf737871, v2
	s_delay_alu instid0(VALU_DEP_4)
	v_add_f32_e32 v4, v4, v203
	v_fmac_f32_e32 v2, 0x3f737871, v14
	v_add_f32_e32 v10, v30, v142
	v_add_f32_e32 v0, v0, v170
	v_fmac_f32_e32 v146, 0xbf167918, v12
	v_add_f32_e32 v4, v4, v207
	v_add_f32_e32 v9, v19, v139
	s_delay_alu instid0(VALU_DEP_4) | instskip(NEXT) | instid1(VALU_DEP_4)
	v_dual_add_f32 v11, v3, v143 :: v_dual_add_f32 v0, v0, v166
	v_fmac_f32_e32 v146, 0x3e9e377a, v16
	s_delay_alu instid0(VALU_DEP_4) | instskip(SKIP_1) | instid1(VALU_DEP_3)
	v_add_f32_e32 v150, v4, v211
	v_fmac_f32_e32 v2, 0x3f167918, v12
	v_add_f32_e32 v6, v146, v28
	s_delay_alu instid0(VALU_DEP_3)
	v_add_f32_e32 v4, v0, v150
	s_waitcnt vmcnt(0)
	ds_store_b128 v154, v[4:7]
	ds_store_b128 v154, v[8:11] offset:16
	v_sub_f32_e32 v11, v19, v139
	v_dual_sub_f32 v139, v209, v213 :: v_dual_mul_f32 v12, 0xbf167918, v22
	v_sub_f32_e32 v7, v1, v151
	v_dual_sub_f32 v1, v3, v143 :: v_dual_fmac_f32 v2, 0x3e9e377a, v16
	s_delay_alu instid0(VALU_DEP_3) | instskip(SKIP_3) | instid1(VALU_DEP_4)
	v_dual_add_f32 v5, v17, v13 :: v_dual_fmac_f32 v12, 0xbf4f1bbd, v23
	v_dual_sub_f32 v6, v0, v150 :: v_dual_sub_f32 v3, v17, v13
	v_sub_f32_e32 v8, v146, v28
	v_sub_f32_e32 v10, v31, v138
	v_add_f32_e32 v4, v2, v12
	v_sub_f32_e32 v2, v2, v12
	v_sub_f32_e32 v12, v140, v148
	v_dual_sub_f32 v0, v30, v142 :: v_dual_sub_f32 v9, v147, v29
	ds_store_b128 v154, v[4:7] offset:32
	ds_store_b128 v154, v[8:11] offset:48
	;; [unrolled: 1-line block ×3, first 2 shown]
	v_add_f32_e32 v1, v137, v141
	v_dual_add_f32 v31, v202, v214 :: v_dual_sub_f32 v16, v149, v153
	v_sub_f32_e32 v28, v202, v214
	v_sub_f32_e32 v6, v141, v145
	s_delay_alu instid0(VALU_DEP_4) | instskip(SKIP_2) | instid1(VALU_DEP_3)
	v_add_f32_e32 v1, v1, v145
	v_dual_sub_f32 v30, v201, v213 :: v_dual_sub_f32 v3, v140, v144
	v_dual_sub_f32 v9, v144, v152 :: v_dual_sub_f32 v10, v141, v149
	v_dual_add_f32 v1, v1, v153 :: v_dual_sub_f32 v14, v148, v152
	v_sub_f32_e32 v22, v201, v205
	v_add_f32_e32 v16, v6, v16
	s_delay_alu instid0(VALU_DEP_3) | instskip(SKIP_3) | instid1(VALU_DEP_3)
	v_dual_add_f32 v0, v136, v140 :: v_dual_add_f32 v19, v1, v149
	v_add_f32_e32 v1, v183, v202
	v_dual_fmac_f32 v183, -0.5, v31 :: v_dual_sub_f32 v4, v144, v140
	v_dual_add_f32 v11, v140, v148 :: v_dual_sub_f32 v140, v214, v210
	v_add_f32_e32 v1, v1, v206
	v_dual_add_f32 v14, v3, v14 :: v_dual_fmamk_f32 v3, v30, 0x3f737871, v24
	s_delay_alu instid0(VALU_DEP_3) | instskip(NEXT) | instid1(VALU_DEP_3)
	v_dual_add_f32 v5, v145, v153 :: v_dual_add_f32 v26, v26, v140
	v_add_f32_e32 v1, v1, v210
	v_add_f32_e32 v13, v141, v149
	s_delay_alu instid0(VALU_DEP_4)
	v_fmac_f32_e32 v3, 0x3f167918, v25
	v_fma_f32 v11, -0.5, v11, v136
	v_sub_f32_e32 v7, v145, v141
	v_add_f32_e32 v143, v1, v214
	v_add_f32_e32 v20, v205, v209
	v_fmamk_f32 v1, v25, 0xbf737871, v183
	v_fmac_f32_e32 v3, 0x3e9e377a, v26
	v_sub_f32_e32 v17, v153, v149
	v_sub_f32_e32 v23, v205, v201
	v_fma_f32 v20, -0.5, v20, v182
	v_dual_fmac_f32 v1, 0x3f167918, v30 :: v_dual_sub_f32 v8, v145, v153
	v_dual_sub_f32 v138, v213, v209 :: v_dual_sub_f32 v141, v210, v214
	s_delay_alu instid0(VALU_DEP_3) | instskip(NEXT) | instid1(VALU_DEP_2)
	v_dual_fmamk_f32 v6, v28, 0xbf737871, v20 :: v_dual_add_f32 v29, v201, v213
	v_dual_fmac_f32 v183, 0x3f737871, v25 :: v_dual_add_f32 v22, v22, v138
	v_mul_f32_e32 v138, 0xbf167918, v3
	s_delay_alu instid0(VALU_DEP_2) | instskip(NEXT) | instid1(VALU_DEP_1)
	v_dual_fmac_f32 v6, 0xbf167918, v21 :: v_dual_fmac_f32 v183, 0xbf167918, v30
	v_fmac_f32_e32 v6, 0x3e9e377a, v22
	s_delay_alu instid0(VALU_DEP_1) | instskip(NEXT) | instid1(VALU_DEP_4)
	v_mul_f32_e32 v140, 0x3f167918, v6
	v_fmac_f32_e32 v138, 0x3f4f1bbd, v6
	s_delay_alu instid0(VALU_DEP_2)
	v_fmac_f32_e32 v140, 0x3f4f1bbd, v3
	v_add_f32_e32 v3, v4, v15
	v_fma_f32 v15, -0.5, v5, v137
	v_fmac_f32_e32 v137, -0.5, v13
	v_fmamk_f32 v13, v8, 0x3f737871, v11
	v_fmac_f32_e32 v11, 0xbf737871, v8
	s_delay_alu instid0(VALU_DEP_2) | instskip(NEXT) | instid1(VALU_DEP_2)
	v_fmac_f32_e32 v13, 0xbf167918, v10
	v_fmac_f32_e32 v11, 0x3f167918, v10
	s_delay_alu instid0(VALU_DEP_2) | instskip(NEXT) | instid1(VALU_DEP_2)
	v_fmac_f32_e32 v13, 0x3e9e377a, v3
	v_fmac_f32_e32 v11, 0x3e9e377a, v3
	v_add_f32_e32 v3, v7, v17
	v_fmamk_f32 v17, v9, 0xbf737871, v137
	v_fmac_f32_e32 v137, 0x3f737871, v9
	s_delay_alu instid0(VALU_DEP_2) | instskip(NEXT) | instid1(VALU_DEP_2)
	v_fmac_f32_e32 v17, 0x3f167918, v12
	v_fmac_f32_e32 v137, 0xbf167918, v12
	s_delay_alu instid0(VALU_DEP_2) | instskip(NEXT) | instid1(VALU_DEP_2)
	v_fmac_f32_e32 v17, 0x3e9e377a, v3
	v_fmac_f32_e32 v137, 0x3e9e377a, v3
	v_dual_add_f32 v3, v23, v139 :: v_dual_add_f32 v0, v0, v144
	s_delay_alu instid0(VALU_DEP_1) | instskip(NEXT) | instid1(VALU_DEP_1)
	v_add_f32_e32 v0, v0, v152
	v_add_f32_e32 v18, v0, v148
	;; [unrolled: 1-line block ×3, first 2 shown]
	s_delay_alu instid0(VALU_DEP_1) | instskip(NEXT) | instid1(VALU_DEP_1)
	v_add_f32_e32 v0, v0, v205
	v_add_f32_e32 v0, v0, v209
	s_delay_alu instid0(VALU_DEP_1) | instskip(SKIP_2) | instid1(VALU_DEP_2)
	v_add_f32_e32 v142, v0, v213
	v_add_f32_e32 v0, v27, v141
	v_fma_f32 v27, -0.5, v29, v182
	v_fmac_f32_e32 v1, 0x3e9e377a, v0
	v_add_f32_e32 v2, v144, v152
	scratch_load_b32 v144, off, off offset:312 ; 4-byte Folded Reload
	v_fmac_f32_e32 v183, 0x3e9e377a, v0
	v_fmamk_f32 v0, v21, 0x3f737871, v27
	v_fmac_f32_e32 v27, 0xbf737871, v21
	v_mul_f32_e32 v23, 0xbf737871, v1
	v_mul_f32_e32 v139, 0x3e9e377a, v1
	;; [unrolled: 1-line block ×4, first 2 shown]
	v_fmac_f32_e32 v27, 0x3f167918, v28
	v_dual_fmac_f32 v0, 0xbf167918, v28 :: v_dual_add_f32 v1, v19, v143
	s_delay_alu instid0(VALU_DEP_2) | instskip(NEXT) | instid1(VALU_DEP_2)
	v_fmac_f32_e32 v27, 0x3e9e377a, v3
	v_fmac_f32_e32 v0, 0x3e9e377a, v3
	s_delay_alu instid0(VALU_DEP_2)
	v_fmac_f32_e32 v29, 0xbe9e377a, v27
	v_fmac_f32_e32 v31, 0x3f737871, v27
	v_fma_f32 v27, -0.5, v2, v136
	v_fmamk_f32 v141, v12, 0x3f737871, v15
	v_dual_fmac_f32 v15, 0xbf737871, v12 :: v_dual_fmac_f32 v24, 0xbf737871, v30
	v_fmac_f32_e32 v23, 0x3e9e377a, v0
	s_delay_alu instid0(VALU_DEP_4) | instskip(NEXT) | instid1(VALU_DEP_4)
	v_fmamk_f32 v136, v10, 0xbf737871, v27
	v_fmac_f32_e32 v141, 0x3f167918, v9
	v_fmac_f32_e32 v27, 0x3f737871, v10
	;; [unrolled: 1-line block ×3, first 2 shown]
	s_delay_alu instid0(VALU_DEP_4) | instskip(NEXT) | instid1(VALU_DEP_4)
	v_dual_fmac_f32 v15, 0xbf167918, v9 :: v_dual_fmac_f32 v136, 0xbf167918, v8
	v_fmac_f32_e32 v141, 0x3e9e377a, v16
	s_delay_alu instid0(VALU_DEP_4) | instskip(NEXT) | instid1(VALU_DEP_4)
	v_fmac_f32_e32 v27, 0x3f167918, v8
	v_fmac_f32_e32 v24, 0x3e9e377a, v26
	v_dual_fmac_f32 v139, 0x3f737871, v0 :: v_dual_add_f32 v4, v13, v23
	s_delay_alu instid0(VALU_DEP_4) | instskip(NEXT) | instid1(VALU_DEP_3)
	v_dual_add_f32 v3, v141, v140 :: v_dual_add_f32 v6, v11, v29
	v_mul_f32_e32 v9, 0xbf4f1bbd, v24
	v_fmac_f32_e32 v136, 0x3e9e377a, v14
	v_fmac_f32_e32 v27, 0x3e9e377a, v14
	v_dual_add_f32 v0, v18, v142 :: v_dual_add_f32 v5, v17, v139
	s_delay_alu instid0(VALU_DEP_3)
	v_dual_add_f32 v7, v137, v31 :: v_dual_add_f32 v2, v136, v138
	s_waitcnt vmcnt(0)
	ds_store_b128 v144, v[0:3]
	ds_store_b128 v144, v[4:7] offset:16
	v_sub_f32_e32 v5, v141, v140
	v_fmac_f32_e32 v20, 0x3f737871, v28
	v_mul_f32_e32 v8, 0xbf167918, v24
	v_dual_fmac_f32 v15, 0x3e9e377a, v16 :: v_dual_sub_f32 v2, v18, v142
	s_delay_alu instid0(VALU_DEP_3) | instskip(SKIP_2) | instid1(VALU_DEP_3)
	v_dual_sub_f32 v3, v19, v143 :: v_dual_fmac_f32 v20, 0x3f167918, v21
	v_sub_f32_e32 v4, v136, v138
	v_sub_f32_e32 v6, v13, v23
	v_dual_sub_f32 v7, v17, v139 :: v_dual_fmac_f32 v20, 0x3e9e377a, v22
	s_delay_alu instid0(VALU_DEP_1) | instskip(SKIP_1) | instid1(VALU_DEP_2)
	v_fmac_f32_e32 v8, 0xbf4f1bbd, v20
	v_fmac_f32_e32 v9, 0x3f167918, v20
	v_add_f32_e32 v0, v27, v8
	s_delay_alu instid0(VALU_DEP_2)
	v_add_f32_e32 v1, v15, v9
	ds_store_b128 v144, v[0:3] offset:32
	ds_store_b128 v144, v[4:7] offset:48
	v_dual_sub_f32 v1, v137, v31 :: v_dual_sub_f32 v0, v11, v29
	v_sub_f32_e32 v2, v27, v8
	v_sub_f32_e32 v3, v15, v9
	ds_store_b128 v144, v[0:3] offset:64
	s_waitcnt lgkmcnt(0)
	s_barrier
	buffer_gl0_inv
	ds_load_2addr_b64 v[0:3], v160 offset0:104 offset1:204
	ds_load_2addr_b64 v[4:7], v218 offset0:80 offset1:180
	v_add_nc_u32_e32 v160, 0x4800, v247
	v_add_nc_u32_e32 v218, 0x5000, v247
	s_waitcnt lgkmcnt(1)
	v_mul_f32_e32 v8, v232, v1
	v_mul_f32_e32 v24, v253, v3
	s_waitcnt lgkmcnt(0)
	v_mul_f32_e32 v10, v234, v5
	v_mul_f32_e32 v26, v255, v7
	v_fmac_f32_e32 v8, v231, v0
	v_mul_f32_e32 v0, v232, v0
	v_fmac_f32_e32 v24, v252, v2
	s_delay_alu instid0(VALU_DEP_4) | instskip(NEXT) | instid1(VALU_DEP_3)
	v_fmac_f32_e32 v26, v254, v6
	v_fma_f32 v9, v231, v1, -v0
	v_mul_f32_e32 v0, v234, v4
	s_delay_alu instid0(VALU_DEP_1) | instskip(SKIP_1) | instid1(VALU_DEP_1)
	v_fma_f32 v11, v233, v5, -v0
	v_mul_f32_e32 v0, v253, v2
	v_fma_f32 v25, v252, v3, -v0
	v_mul_f32_e32 v0, v255, v6
	s_delay_alu instid0(VALU_DEP_1) | instskip(SKIP_4) | instid1(VALU_DEP_2)
	v_fma_f32 v27, v254, v7, -v0
	ds_load_2addr_b64 v[0:3], v246 offset0:48 offset1:148
	s_waitcnt lgkmcnt(0)
	v_mul_f32_e32 v136, v228, v3
	v_mul_f32_e32 v28, v224, v1
	v_fmac_f32_e32 v136, v227, v2
	v_fmac_f32_e32 v10, v233, v4
	ds_load_2addr_b64 v[4:7], v164 offset0:152 offset1:252
	v_fmac_f32_e32 v28, v223, v0
	v_mul_f32_e32 v0, v224, v0
	v_sub_f32_e32 v153, v8, v10
	s_delay_alu instid0(VALU_DEP_2) | instskip(SKIP_4) | instid1(VALU_DEP_3)
	v_fma_f32 v29, v223, v1, -v0
	s_waitcnt lgkmcnt(0)
	v_mul_f32_e32 v0, v226, v4
	v_mul_f32_e32 v30, v226, v5
	;; [unrolled: 1-line block ×3, first 2 shown]
	v_fma_f32 v31, v225, v5, -v0
	v_mul_f32_e32 v0, v228, v2
	s_delay_alu instid0(VALU_DEP_3) | instskip(NEXT) | instid1(VALU_DEP_2)
	v_fmac_f32_e32 v138, v229, v6
	v_fma_f32 v137, v227, v3, -v0
	v_mul_f32_e32 v0, v230, v6
	s_delay_alu instid0(VALU_DEP_1) | instskip(SKIP_4) | instid1(VALU_DEP_2)
	v_fma_f32 v139, v229, v7, -v0
	ds_load_2addr_b64 v[0:3], v250 offset0:120 offset1:220
	s_waitcnt lgkmcnt(0)
	v_mul_f32_e32 v144, v220, v3
	v_mul_f32_e32 v140, v177, v1
	v_fmac_f32_e32 v144, v219, v2
	v_fmac_f32_e32 v30, v225, v4
	ds_load_2addr_b64 v[4:7], v160 offset0:96 offset1:196
	v_fmac_f32_e32 v140, v176, v0
	v_mul_f32_e32 v0, v177, v0
	s_delay_alu instid0(VALU_DEP_1) | instskip(SKIP_4) | instid1(VALU_DEP_3)
	v_fma_f32 v141, v176, v1, -v0
	s_waitcnt lgkmcnt(0)
	v_mul_f32_e32 v0, v179, v4
	v_mul_f32_e32 v142, v179, v5
	v_mul_f32_e32 v146, v222, v7
	v_fma_f32 v143, v178, v5, -v0
	v_mul_f32_e32 v0, v220, v2
	s_delay_alu instid0(VALU_DEP_4) | instskip(NEXT) | instid1(VALU_DEP_4)
	v_fmac_f32_e32 v142, v178, v4
	v_fmac_f32_e32 v146, v221, v6
	s_delay_alu instid0(VALU_DEP_3) | instskip(SKIP_1) | instid1(VALU_DEP_1)
	v_fma_f32 v145, v219, v3, -v0
	v_mul_f32_e32 v0, v222, v6
	v_fma_f32 v147, v221, v7, -v0
	ds_load_2addr_b64 v[0:3], v161 offset0:64 offset1:164
	ds_load_2addr_b64 v[4:7], v218 offset0:40 offset1:140
	s_waitcnt lgkmcnt(1)
	v_mul_f32_e32 v148, v33, v1
	s_waitcnt lgkmcnt(0)
	v_mul_f32_e32 v150, v175, v7
	s_delay_alu instid0(VALU_DEP_2) | instskip(SKIP_1) | instid1(VALU_DEP_3)
	v_fmac_f32_e32 v148, v32, v0
	v_dual_mul_f32 v0, v33, v0 :: v_dual_mul_f32 v33, v35, v5
	v_fmac_f32_e32 v150, v174, v6
	s_delay_alu instid0(VALU_DEP_2) | instskip(SKIP_1) | instid1(VALU_DEP_4)
	v_fma_f32 v32, v32, v1, -v0
	v_mul_f32_e32 v0, v35, v4
	v_fmac_f32_e32 v33, v34, v4
	v_mul_f32_e32 v35, v173, v3
	s_delay_alu instid0(VALU_DEP_3) | instskip(SKIP_1) | instid1(VALU_DEP_3)
	v_fma_f32 v34, v34, v5, -v0
	v_mul_f32_e32 v0, v173, v2
	v_fmac_f32_e32 v35, v172, v2
	s_delay_alu instid0(VALU_DEP_2) | instskip(SKIP_1) | instid1(VALU_DEP_1)
	v_fma_f32 v149, v172, v3, -v0
	v_mul_f32_e32 v0, v175, v6
	v_fma_f32 v151, v174, v7, -v0
	ds_load_2addr_b64 v[0:3], v217 offset0:8 offset1:108
	ds_load_2addr_b64 v[4:7], v189 offset0:112 offset1:212
	s_waitcnt lgkmcnt(1)
	v_mul_f32_e32 v152, v41, v1
	s_delay_alu instid0(VALU_DEP_1) | instskip(SKIP_2) | instid1(VALU_DEP_1)
	v_fmac_f32_e32 v152, v40, v0
	s_waitcnt lgkmcnt(0)
	v_dual_mul_f32 v0, v41, v0 :: v_dual_mul_f32 v41, v43, v5
	v_fma_f32 v40, v40, v1, -v0
	v_mul_f32_e32 v0, v43, v4
	s_delay_alu instid0(VALU_DEP_3) | instskip(SKIP_1) | instid1(VALU_DEP_3)
	v_fmac_f32_e32 v41, v42, v4
	v_dual_mul_f32 v43, v37, v3 :: v_dual_add_f32 v4, v8, v10
	v_fma_f32 v42, v42, v5, -v0
	v_mul_f32_e32 v0, v37, v2
	s_delay_alu instid0(VALU_DEP_3) | instskip(SKIP_2) | instid1(VALU_DEP_4)
	v_fmac_f32_e32 v43, v36, v2
	v_mul_f32_e32 v37, v39, v7
	v_add_f32_e32 v5, v9, v11
	v_fma_f32 v36, v36, v3, -v0
	v_mul_f32_e32 v0, v39, v6
	s_delay_alu instid0(VALU_DEP_4) | instskip(SKIP_1) | instid1(VALU_DEP_3)
	v_fmac_f32_e32 v37, v38, v6
	v_sub_f32_e32 v39, v9, v11
	v_fma_f32 v38, v38, v7, -v0
	ds_load_2addr_b64 v[0:3], v247 offset1:100
	s_waitcnt lgkmcnt(0)
	v_fma_f32 v20, -0.5, v4, v0
	v_fma_f32 v21, -0.5, v5, v1
	v_dual_add_f32 v1, v1, v9 :: v_dual_add_f32 v0, v0, v8
	s_delay_alu instid0(VALU_DEP_3) | instskip(NEXT) | instid1(VALU_DEP_3)
	v_fmamk_f32 v22, v39, 0xbf5db3d7, v20
	v_fmamk_f32 v23, v153, 0x3f5db3d7, v21
	s_delay_alu instid0(VALU_DEP_3)
	v_dual_add_f32 v1, v1, v11 :: v_dual_add_f32 v0, v0, v10
	ds_load_2addr_b64 v[4:7], v251 offset0:72 offset1:172
	ds_load_2addr_b64 v[8:11], v191 offset0:144 offset1:244
	;; [unrolled: 1-line block ×4, first 2 shown]
	s_waitcnt lgkmcnt(0)
	s_barrier
	buffer_gl0_inv
	scratch_load_b32 v158, off, off offset:256 ; 4-byte Folded Reload
	v_fmac_f32_e32 v20, 0x3f5db3d7, v39
	v_fmac_f32_e32 v21, 0xbf5db3d7, v153
	s_waitcnt vmcnt(0)
	ds_store_2addr_b64 v158, v[0:1], v[22:23] offset1:10
	v_dual_add_f32 v0, v24, v26 :: v_dual_add_f32 v1, v2, v24
	v_sub_f32_e32 v23, v24, v26
	scratch_load_b32 v24, off, off offset:260 ; 4-byte Folded Reload
	ds_store_b64 v158, v[20:21] offset:160
	v_add_f32_e32 v20, v3, v25
	v_fma_f32 v2, -0.5, v0, v2
	v_add_f32_e32 v0, v1, v26
	v_sub_f32_e32 v22, v25, v27
	s_delay_alu instid0(VALU_DEP_4) | instskip(SKIP_1) | instid1(VALU_DEP_1)
	v_add_f32_e32 v1, v20, v27
	v_add_f32_e32 v20, v25, v27
	v_dual_fmac_f32 v3, -0.5, v20 :: v_dual_fmamk_f32 v20, v22, 0xbf5db3d7, v2
	v_fmac_f32_e32 v2, 0x3f5db3d7, v22
	scratch_load_b32 v22, off, off offset:268 ; 4-byte Folded Reload
	v_fmamk_f32 v21, v23, 0x3f5db3d7, v3
	v_fmac_f32_e32 v3, 0xbf5db3d7, v23
	s_waitcnt vmcnt(1)
	ds_store_b64 v24, v[2:3] offset:160
	v_add_f32_e32 v2, v28, v30
	ds_store_2addr_b64 v24, v[0:1], v[20:21] offset1:10
	v_sub_f32_e32 v20, v29, v31
	v_dual_add_f32 v0, v4, v28 :: v_dual_add_f32 v3, v29, v31
	v_fma_f32 v2, -0.5, v2, v4
	v_add_f32_e32 v1, v5, v29
	v_sub_f32_e32 v21, v28, v30
	s_delay_alu instid0(VALU_DEP_4)
	v_add_f32_e32 v0, v0, v30
	v_fma_f32 v3, -0.5, v3, v5
	v_fmamk_f32 v4, v20, 0xbf5db3d7, v2
	v_fmac_f32_e32 v2, 0x3f5db3d7, v20
	scratch_load_b32 v20, off, off offset:248 ; 4-byte Folded Reload
	v_add_f32_e32 v1, v1, v31
	v_fmamk_f32 v5, v21, 0x3f5db3d7, v3
	v_fmac_f32_e32 v3, 0xbf5db3d7, v21
	s_waitcnt vmcnt(1)
	ds_store_2addr_b64 v22, v[0:1], v[4:5] offset1:10
	ds_store_b64 v22, v[2:3] offset:160
	v_dual_add_f32 v0, v136, v138 :: v_dual_add_f32 v3, v137, v139
	v_add_f32_e32 v2, v6, v136
	v_dual_sub_f32 v4, v137, v139 :: v_dual_sub_f32 v5, v136, v138
	s_delay_alu instid0(VALU_DEP_3) | instskip(NEXT) | instid1(VALU_DEP_4)
	v_fma_f32 v6, -0.5, v0, v6
	v_dual_add_f32 v0, v7, v137 :: v_dual_fmac_f32 v7, -0.5, v3
	s_delay_alu instid0(VALU_DEP_1) | instskip(NEXT) | instid1(VALU_DEP_3)
	v_dual_add_f32 v1, v0, v139 :: v_dual_add_f32 v0, v2, v138
	v_fmamk_f32 v2, v4, 0xbf5db3d7, v6
	s_delay_alu instid0(VALU_DEP_3)
	v_dual_fmamk_f32 v3, v5, 0x3f5db3d7, v7 :: v_dual_fmac_f32 v6, 0x3f5db3d7, v4
	v_fmac_f32_e32 v7, 0xbf5db3d7, v5
	s_waitcnt vmcnt(0)
	ds_store_2addr_b64 v20, v[0:1], v[2:3] offset1:10
	v_add_f32_e32 v2, v140, v142
	v_add_f32_e32 v0, v8, v140
	ds_store_b64 v20, v[6:7] offset:160
	v_sub_f32_e32 v6, v141, v143
	v_add_f32_e32 v3, v141, v143
	v_fma_f32 v2, -0.5, v2, v8
	scratch_load_b32 v8, off, off offset:244 ; 4-byte Folded Reload
	v_add_f32_e32 v1, v9, v141
	v_sub_f32_e32 v7, v140, v142
	v_fma_f32 v3, -0.5, v3, v9
	v_fmamk_f32 v4, v6, 0xbf5db3d7, v2
	v_fmac_f32_e32 v2, 0x3f5db3d7, v6
	scratch_load_b32 v6, off, off offset:252 ; 4-byte Folded Reload
	v_dual_add_f32 v0, v0, v142 :: v_dual_add_f32 v1, v1, v143
	v_fmamk_f32 v5, v7, 0x3f5db3d7, v3
	v_fmac_f32_e32 v3, 0xbf5db3d7, v7
	v_sub_f32_e32 v7, v148, v33
	s_waitcnt vmcnt(1)
	ds_store_2addr_b64 v8, v[0:1], v[4:5] offset1:10
	v_add_f32_e32 v0, v144, v146
	ds_store_b64 v8, v[2:3] offset:160
	v_dual_add_f32 v2, v10, v144 :: v_dual_add_f32 v1, v11, v145
	v_sub_f32_e32 v4, v145, v147
	v_fma_f32 v10, -0.5, v0, v10
	v_dual_add_f32 v0, v145, v147 :: v_dual_sub_f32 v5, v144, v146
	scratch_load_b32 v8, off, off offset:264 ; 4-byte Folded Reload
	v_add_f32_e32 v1, v1, v147
	v_dual_fmac_f32 v11, -0.5, v0 :: v_dual_add_f32 v0, v2, v146
	v_fmamk_f32 v2, v4, 0xbf5db3d7, v10
	s_delay_alu instid0(VALU_DEP_2)
	v_dual_fmac_f32 v10, 0x3f5db3d7, v4 :: v_dual_fmamk_f32 v3, v5, 0x3f5db3d7, v11
	v_fmac_f32_e32 v11, 0xbf5db3d7, v5
	s_waitcnt vmcnt(1)
	ds_store_2addr_b64 v6, v[0:1], v[2:3] offset1:10
	v_add_f32_e32 v2, v148, v33
	ds_store_b64 v6, v[10:11] offset:160
	v_sub_f32_e32 v6, v32, v34
	v_dual_add_f32 v0, v13, v32 :: v_dual_add_f32 v3, v32, v34
	v_fma_f32 v2, -0.5, v2, v12
	s_delay_alu instid0(VALU_DEP_2) | instskip(SKIP_1) | instid1(VALU_DEP_3)
	v_add_f32_e32 v1, v0, v34
	v_add_f32_e32 v0, v12, v148
	v_fmamk_f32 v4, v6, 0xbf5db3d7, v2
	v_fmac_f32_e32 v2, 0x3f5db3d7, v6
	scratch_load_b32 v6, off, off offset:284 ; 4-byte Folded Reload
	v_fma_f32 v3, -0.5, v3, v13
	s_delay_alu instid0(VALU_DEP_1)
	v_dual_add_f32 v0, v0, v33 :: v_dual_fmamk_f32 v5, v7, 0x3f5db3d7, v3
	v_fmac_f32_e32 v3, 0xbf5db3d7, v7
	v_sub_f32_e32 v7, v152, v41
	s_waitcnt vmcnt(1)
	ds_store_2addr_b64 v8, v[0:1], v[4:5] offset1:10
	v_add_f32_e32 v0, v35, v150
	ds_store_b64 v8, v[2:3] offset:160
	v_dual_add_f32 v2, v14, v35 :: v_dual_add_f32 v1, v15, v149
	v_sub_f32_e32 v4, v149, v151
	v_fma_f32 v14, -0.5, v0, v14
	v_dual_add_f32 v0, v149, v151 :: v_dual_sub_f32 v5, v35, v150
	scratch_load_b32 v8, off, off offset:288 ; 4-byte Folded Reload
	v_add_f32_e32 v1, v1, v151
	v_dual_fmac_f32 v15, -0.5, v0 :: v_dual_add_f32 v0, v2, v150
	v_fmamk_f32 v2, v4, 0xbf5db3d7, v14
	s_delay_alu instid0(VALU_DEP_2)
	v_dual_fmac_f32 v14, 0x3f5db3d7, v4 :: v_dual_fmamk_f32 v3, v5, 0x3f5db3d7, v15
	v_fmac_f32_e32 v15, 0xbf5db3d7, v5
	s_waitcnt vmcnt(1)
	ds_store_2addr_b64 v6, v[0:1], v[2:3] offset1:10
	v_add_f32_e32 v2, v152, v41
	ds_store_b64 v6, v[14:15] offset:160
	v_sub_f32_e32 v6, v40, v42
	v_add_f32_e32 v3, v40, v42
	v_add_f32_e32 v0, v16, v152
	v_fma_f32 v2, -0.5, v2, v16
	v_add_f32_e32 v1, v17, v40
	s_delay_alu instid0(VALU_DEP_4) | instskip(NEXT) | instid1(VALU_DEP_4)
	v_fma_f32 v3, -0.5, v3, v17
	v_add_f32_e32 v0, v0, v41
	s_delay_alu instid0(VALU_DEP_4)
	v_fmamk_f32 v4, v6, 0xbf5db3d7, v2
	v_fmac_f32_e32 v2, 0x3f5db3d7, v6
	scratch_load_b32 v6, off, off offset:280 ; 4-byte Folded Reload
	v_add_f32_e32 v1, v1, v42
	v_fmamk_f32 v5, v7, 0x3f5db3d7, v3
	v_fmac_f32_e32 v3, 0xbf5db3d7, v7
	s_waitcnt vmcnt(1)
	ds_store_2addr_b64 v8, v[0:1], v[4:5] offset1:10
	ds_store_b64 v8, v[2:3] offset:160
	v_dual_add_f32 v0, v43, v37 :: v_dual_add_f32 v1, v18, v43
	v_add_f32_e32 v2, v19, v36
	v_dual_sub_f32 v4, v36, v38 :: v_dual_sub_f32 v5, v43, v37
	s_delay_alu instid0(VALU_DEP_3) | instskip(NEXT) | instid1(VALU_DEP_3)
	v_fma_f32 v18, -0.5, v0, v18
	v_dual_add_f32 v0, v1, v37 :: v_dual_add_f32 v1, v2, v38
	v_add_f32_e32 v2, v36, v38
	s_delay_alu instid0(VALU_DEP_1) | instskip(NEXT) | instid1(VALU_DEP_1)
	v_dual_fmac_f32 v19, -0.5, v2 :: v_dual_fmamk_f32 v2, v4, 0xbf5db3d7, v18
	v_dual_fmac_f32 v18, 0x3f5db3d7, v4 :: v_dual_fmamk_f32 v3, v5, 0x3f5db3d7, v19
	v_fmac_f32_e32 v19, 0xbf5db3d7, v5
	s_waitcnt vmcnt(0)
	ds_store_2addr_b64 v6, v[0:1], v[2:3] offset1:10
	ds_store_b64 v6, v[18:19] offset:160
	s_waitcnt lgkmcnt(0)
	s_barrier
	buffer_gl0_inv
	ds_load_2addr_b64 v[0:3], v189 offset0:112 offset1:212
	s_waitcnt lgkmcnt(0)
	v_mul_f32_e32 v24, v216, v1
	v_mul_f32_e32 v10, v198, v3
	s_delay_alu instid0(VALU_DEP_2) | instskip(SKIP_1) | instid1(VALU_DEP_3)
	v_fmac_f32_e32 v24, v215, v0
	v_mul_f32_e32 v0, v216, v0
	v_fmac_f32_e32 v10, v197, v2
	s_delay_alu instid0(VALU_DEP_2) | instskip(SKIP_1) | instid1(VALU_DEP_1)
	v_fma_f32 v25, v215, v1, -v0
	v_mul_f32_e32 v0, v198, v2
	v_fma_f32 v11, v197, v3, -v0
	ds_load_2addr_b64 v[0:3], v218 offset0:40 offset1:140
	s_waitcnt lgkmcnt(0)
	v_mul_f32_e32 v137, v236, v3
	v_mul_f32_e32 v15, v95, v1
	s_delay_alu instid0(VALU_DEP_2) | instskip(NEXT) | instid1(VALU_DEP_2)
	v_fmac_f32_e32 v137, v235, v2
	v_dual_mul_f32 v2, v236, v2 :: v_dual_fmac_f32 v15, v94, v0
	v_mul_f32_e32 v0, v95, v0
	s_delay_alu instid0(VALU_DEP_2) | instskip(NEXT) | instid1(VALU_DEP_2)
	v_fma_f32 v136, v235, v3, -v2
	v_fma_f32 v14, v94, v1, -v0
	ds_load_2addr_b64 v[0:3], v164 offset0:152 offset1:252
	s_waitcnt lgkmcnt(0)
	v_mul_f32_e32 v13, v93, v3
	v_mul_f32_e32 v31, v85, v1
	s_delay_alu instid0(VALU_DEP_2) | instskip(NEXT) | instid1(VALU_DEP_2)
	v_fmac_f32_e32 v13, v92, v2
	v_dual_mul_f32 v2, v93, v2 :: v_dual_fmac_f32 v31, v84, v0
	v_mul_f32_e32 v0, v85, v0
	s_delay_alu instid0(VALU_DEP_2) | instskip(NEXT) | instid1(VALU_DEP_2)
	v_fma_f32 v12, v92, v3, -v2
	v_fma_f32 v30, v84, v1, -v0
	ds_load_2addr_b64 v[0:3], v160 offset0:96 offset1:196
	s_waitcnt lgkmcnt(0)
	v_mul_f32_e32 v34, v87, v3
	v_mul_f32_e32 v84, v79, v1
	s_delay_alu instid0(VALU_DEP_2) | instskip(SKIP_1) | instid1(VALU_DEP_3)
	v_fmac_f32_e32 v34, v86, v2
	v_mul_f32_e32 v2, v87, v2
	v_fmac_f32_e32 v84, v78, v0
	v_mul_f32_e32 v0, v79, v0
	s_delay_alu instid0(VALU_DEP_3) | instskip(NEXT) | instid1(VALU_DEP_2)
	v_fma_f32 v33, v86, v3, -v2
	v_fma_f32 v79, v78, v1, -v0
	ds_load_2addr_b64 v[0:3], v159 offset0:80 offset1:180
	s_waitcnt lgkmcnt(0)
	v_dual_mul_f32 v78, v77, v3 :: v_dual_mul_f32 v19, v91, v1
	s_delay_alu instid0(VALU_DEP_1) | instskip(NEXT) | instid1(VALU_DEP_2)
	v_fmac_f32_e32 v78, v76, v2
	v_dual_mul_f32 v2, v77, v2 :: v_dual_fmac_f32 v19, v90, v0
	v_mul_f32_e32 v0, v91, v0
	s_delay_alu instid0(VALU_DEP_2) | instskip(NEXT) | instid1(VALU_DEP_2)
	v_fma_f32 v76, v76, v3, -v2
	v_fma_f32 v18, v90, v1, -v0
	ds_load_2addr_b64 v[0:3], v161 offset0:64 offset1:164
	s_waitcnt lgkmcnt(0)
	v_mul_f32_e32 v17, v89, v3
	v_mul_f32_e32 v35, v65, v1
	s_delay_alu instid0(VALU_DEP_2) | instskip(NEXT) | instid1(VALU_DEP_2)
	v_fmac_f32_e32 v17, v88, v2
	v_dual_mul_f32 v2, v89, v2 :: v_dual_fmac_f32 v35, v64, v0
	v_mul_f32_e32 v0, v65, v0
	s_delay_alu instid0(VALU_DEP_2) | instskip(NEXT) | instid1(VALU_DEP_2)
	v_fma_f32 v16, v88, v3, -v2
	v_fma_f32 v32, v64, v1, -v0
	ds_load_2addr_b64 v[0:3], v217 offset0:8 offset1:108
	s_waitcnt lgkmcnt(0)
	v_mul_f32_e32 v39, v67, v3
	s_delay_alu instid0(VALU_DEP_1) | instskip(SKIP_1) | instid1(VALU_DEP_2)
	v_dual_mul_f32 v64, v63, v1 :: v_dual_fmac_f32 v39, v66, v2
	v_mul_f32_e32 v2, v67, v2
	v_fmac_f32_e32 v64, v62, v0
	v_mul_f32_e32 v0, v63, v0
	s_delay_alu instid0(VALU_DEP_3) | instskip(NEXT) | instid1(VALU_DEP_2)
	v_fma_f32 v37, v66, v3, -v2
	v_fma_f32 v63, v62, v1, -v0
	ds_load_2addr_b64 v[0:3], v250 offset0:120 offset1:220
	s_waitcnt lgkmcnt(0)
	v_dual_mul_f32 v62, v61, v3 :: v_dual_mul_f32 v27, v83, v1
	s_delay_alu instid0(VALU_DEP_1) | instskip(NEXT) | instid1(VALU_DEP_2)
	v_fmac_f32_e32 v62, v60, v2
	v_dual_mul_f32 v2, v61, v2 :: v_dual_fmac_f32 v27, v82, v0
	v_mul_f32_e32 v0, v83, v0
	s_delay_alu instid0(VALU_DEP_2) | instskip(NEXT) | instid1(VALU_DEP_2)
	v_fma_f32 v60, v60, v3, -v2
	v_fma_f32 v26, v82, v1, -v0
	ds_load_2addr_b64 v[0:3], v155 offset0:104 offset1:204
	s_waitcnt lgkmcnt(0)
	v_mul_f32_e32 v23, v81, v3
	v_mul_f32_e32 v41, v57, v1
	s_delay_alu instid0(VALU_DEP_2) | instskip(NEXT) | instid1(VALU_DEP_2)
	v_fmac_f32_e32 v23, v80, v2
	v_dual_mul_f32 v2, v81, v2 :: v_dual_fmac_f32 v41, v56, v0
	v_mul_f32_e32 v0, v57, v0
	s_delay_alu instid0(VALU_DEP_2) | instskip(NEXT) | instid1(VALU_DEP_2)
	v_fma_f32 v20, v80, v3, -v2
	v_fma_f32 v36, v56, v1, -v0
	ds_load_2addr_b64 v[0:3], v246 offset0:48 offset1:148
	s_waitcnt lgkmcnt(0)
	v_mul_f32_e32 v43, v59, v3
	s_delay_alu instid0(VALU_DEP_1) | instskip(SKIP_1) | instid1(VALU_DEP_1)
	v_fmac_f32_e32 v43, v58, v2
	v_mul_f32_e32 v2, v59, v2
	v_fma_f32 v42, v58, v3, -v2
	v_mul_f32_e32 v58, v47, v1
	s_delay_alu instid0(VALU_DEP_1) | instskip(SKIP_1) | instid1(VALU_DEP_2)
	v_fmac_f32_e32 v58, v46, v0
	v_mul_f32_e32 v0, v47, v0
	v_sub_f32_e32 v89, v58, v64
	s_delay_alu instid0(VALU_DEP_2)
	v_fma_f32 v57, v46, v1, -v0
	ds_load_2addr_b64 v[0:3], v245 offset0:32 offset1:132
	v_add_f32_e32 v9, v57, v63
	v_sub_f32_e32 v86, v57, v63
	s_waitcnt lgkmcnt(0)
	v_mul_f32_e32 v56, v45, v3
	v_mul_f32_e32 v28, v71, v1
	s_delay_alu instid0(VALU_DEP_2) | instskip(SKIP_1) | instid1(VALU_DEP_3)
	v_fmac_f32_e32 v56, v44, v2
	v_mul_f32_e32 v2, v45, v2
	v_fmac_f32_e32 v28, v70, v0
	s_delay_alu instid0(VALU_DEP_3) | instskip(NEXT) | instid1(VALU_DEP_3)
	v_dual_mul_f32 v0, v71, v0 :: v_dual_sub_f32 v71, v56, v137
	v_fma_f32 v47, v44, v3, -v2
	s_delay_alu instid0(VALU_DEP_2) | instskip(SKIP_4) | instid1(VALU_DEP_1)
	v_fma_f32 v29, v70, v1, -v0
	ds_load_2addr_b64 v[0:3], v191 offset0:144 offset1:244
	v_sub_f32_e32 v77, v47, v136
	s_waitcnt lgkmcnt(0)
	v_mul_f32_e32 v21, v69, v3
	v_dual_mul_f32 v38, v49, v1 :: v_dual_fmac_f32 v21, v68, v2
	v_mul_f32_e32 v2, v69, v2
	s_delay_alu instid0(VALU_DEP_2) | instskip(SKIP_2) | instid1(VALU_DEP_4)
	v_fmac_f32_e32 v38, v48, v0
	v_mul_f32_e32 v0, v49, v0
	v_sub_f32_e32 v69, v60, v76
	v_fma_f32 v22, v68, v3, -v2
	s_delay_alu instid0(VALU_DEP_3) | instskip(SKIP_3) | instid1(VALU_DEP_1)
	v_fma_f32 v40, v48, v1, -v0
	ds_load_2addr_b64 v[0:3], v195 offset0:88 offset1:188
	s_waitcnt lgkmcnt(0)
	v_mul_f32_e32 v44, v51, v3
	v_fmac_f32_e32 v44, v50, v2
	v_dual_mul_f32 v2, v51, v2 :: v_dual_mul_f32 v51, v240, v1
	s_delay_alu instid0(VALU_DEP_1) | instskip(SKIP_3) | instid1(VALU_DEP_2)
	v_fma_f32 v45, v50, v3, -v2
	ds_load_2addr_b64 v[2:5], v251 offset0:72 offset1:172
	v_fmac_f32_e32 v51, v239, v0
	v_mul_f32_e32 v0, v240, v0
	v_sub_f32_e32 v90, v51, v84
	s_delay_alu instid0(VALU_DEP_2) | instskip(SKIP_2) | instid1(VALU_DEP_2)
	v_fma_f32 v59, v239, v1, -v0
	v_sub_f32_e32 v1, v84, v64
	s_waitcnt lgkmcnt(0)
	v_dual_sub_f32 v87, v59, v79 :: v_dual_mul_f32 v48, v238, v5
	v_mul_f32_e32 v0, v238, v4
	s_delay_alu instid0(VALU_DEP_2) | instskip(NEXT) | instid1(VALU_DEP_2)
	v_fmac_f32_e32 v48, v237, v4
	v_fma_f32 v49, v237, v5, -v0
	ds_load_2addr_b64 v[4:7], v247 offset1:100
	s_waitcnt lgkmcnt(0)
	s_barrier
	buffer_gl0_inv
	scratch_load_b32 v147, off, off offset:308 ; 4-byte Folded Reload
	v_sub_f32_e32 v0, v51, v58
	v_add_f32_e32 v8, v49, v47
	s_delay_alu instid0(VALU_DEP_2) | instskip(SKIP_1) | instid1(VALU_DEP_3)
	v_add_f32_e32 v46, v0, v1
	v_sub_f32_e32 v0, v59, v57
	v_dual_sub_f32 v1, v79, v63 :: v_dual_add_f32 v8, v8, v60
	s_delay_alu instid0(VALU_DEP_1) | instskip(SKIP_4) | instid1(VALU_DEP_3)
	v_add_f32_e32 v50, v0, v1
	v_sub_f32_e32 v0, v56, v62
	v_sub_f32_e32 v1, v137, v78
	v_fma_f32 v82, -0.5, v9, v5
	v_add_f32_e32 v8, v8, v76
	v_dual_add_f32 v61, v0, v1 :: v_dual_sub_f32 v0, v47, v60
	v_sub_f32_e32 v1, v136, v76
	s_delay_alu instid0(VALU_DEP_4) | instskip(NEXT) | instid1(VALU_DEP_4)
	v_fmamk_f32 v85, v90, 0x3f737871, v82
	v_dual_add_f32 v93, v8, v136 :: v_dual_fmac_f32 v82, 0xbf737871, v90
	s_delay_alu instid0(VALU_DEP_3) | instskip(NEXT) | instid1(VALU_DEP_3)
	v_dual_add_f32 v67, v0, v1 :: v_dual_add_f32 v0, v62, v78
	v_fmac_f32_e32 v85, 0x3f167918, v89
	s_delay_alu instid0(VALU_DEP_3) | instskip(NEXT) | instid1(VALU_DEP_3)
	v_fmac_f32_e32 v82, 0xbf167918, v89
	v_fma_f32 v65, -0.5, v0, v48
	s_delay_alu instid0(VALU_DEP_3) | instskip(NEXT) | instid1(VALU_DEP_3)
	v_dual_add_f32 v0, v60, v76 :: v_dual_fmac_f32 v85, 0x3e9e377a, v50
	v_fmac_f32_e32 v82, 0x3e9e377a, v50
	s_delay_alu instid0(VALU_DEP_3) | instskip(NEXT) | instid1(VALU_DEP_3)
	v_fmamk_f32 v1, v77, 0xbf737871, v65
	v_fma_f32 v66, -0.5, v0, v49
	v_fmac_f32_e32 v65, 0x3f737871, v77
	s_delay_alu instid0(VALU_DEP_3) | instskip(NEXT) | instid1(VALU_DEP_3)
	v_fmac_f32_e32 v1, 0xbf167918, v69
	v_fmamk_f32 v0, v71, 0x3f737871, v66
	s_delay_alu instid0(VALU_DEP_3) | instskip(SKIP_1) | instid1(VALU_DEP_4)
	v_dual_fmac_f32 v65, 0x3f167918, v69 :: v_dual_sub_f32 v68, v62, v78
	v_fmac_f32_e32 v66, 0xbf737871, v71
	v_fmac_f32_e32 v1, 0x3e9e377a, v61
	s_delay_alu instid0(VALU_DEP_3) | instskip(NEXT) | instid1(VALU_DEP_4)
	v_fmac_f32_e32 v65, 0x3e9e377a, v61
	v_fmac_f32_e32 v0, 0x3f167918, v68
	s_delay_alu instid0(VALU_DEP_4) | instskip(NEXT) | instid1(VALU_DEP_2)
	v_dual_fmac_f32 v66, 0xbf167918, v68 :: v_dual_sub_f32 v61, v45, v33
	v_fmac_f32_e32 v0, 0x3e9e377a, v67
	s_delay_alu instid0(VALU_DEP_2) | instskip(NEXT) | instid1(VALU_DEP_2)
	v_fmac_f32_e32 v66, 0x3e9e377a, v67
	v_mul_f32_e32 v70, 0xbf167918, v0
	v_mul_f32_e32 v80, 0x3f4f1bbd, v0
	v_add_f32_e32 v0, v4, v51
	s_delay_alu instid0(VALU_DEP_3) | instskip(NEXT) | instid1(VALU_DEP_3)
	v_fmac_f32_e32 v70, 0x3f4f1bbd, v1
	v_fmac_f32_e32 v80, 0x3f167918, v1
	s_delay_alu instid0(VALU_DEP_3) | instskip(NEXT) | instid1(VALU_DEP_2)
	v_dual_add_f32 v0, v0, v58 :: v_dual_add_f32 v1, v58, v64
	v_add_f32_e32 v9, v85, v80
	s_delay_alu instid0(VALU_DEP_2) | instskip(NEXT) | instid1(VALU_DEP_3)
	v_add_f32_e32 v0, v0, v64
	v_fma_f32 v81, -0.5, v1, v4
	v_add_f32_e32 v1, v48, v56
	s_delay_alu instid0(VALU_DEP_3) | instskip(NEXT) | instid1(VALU_DEP_3)
	v_add_f32_e32 v88, v0, v84
	v_dual_add_f32 v0, v5, v59 :: v_dual_fmamk_f32 v83, v87, 0xbf737871, v81
	s_delay_alu instid0(VALU_DEP_3) | instskip(NEXT) | instid1(VALU_DEP_2)
	v_add_f32_e32 v1, v1, v62
	v_dual_fmac_f32 v81, 0x3f737871, v87 :: v_dual_add_f32 v0, v0, v57
	s_delay_alu instid0(VALU_DEP_3) | instskip(NEXT) | instid1(VALU_DEP_3)
	v_fmac_f32_e32 v83, 0xbf167918, v86
	v_add_f32_e32 v1, v1, v78
	s_delay_alu instid0(VALU_DEP_3) | instskip(NEXT) | instid1(VALU_DEP_2)
	v_dual_fmac_f32 v81, 0x3f167918, v86 :: v_dual_add_f32 v0, v0, v63
	v_dual_fmac_f32 v83, 0x3e9e377a, v46 :: v_dual_add_f32 v92, v1, v137
	s_delay_alu instid0(VALU_DEP_2) | instskip(NEXT) | instid1(VALU_DEP_3)
	v_fmac_f32_e32 v81, 0x3e9e377a, v46
	v_dual_mul_f32 v46, 0xbf167918, v66 :: v_dual_add_f32 v91, v0, v79
	s_delay_alu instid0(VALU_DEP_3) | instskip(NEXT) | instid1(VALU_DEP_4)
	v_add_f32_e32 v8, v83, v70
	v_add_f32_e32 v0, v88, v92
	s_delay_alu instid0(VALU_DEP_3) | instskip(NEXT) | instid1(VALU_DEP_4)
	v_fmac_f32_e32 v46, 0xbf4f1bbd, v65
	v_add_f32_e32 v1, v91, v93
	s_waitcnt vmcnt(0)
	ds_store_2addr_b64 v147, v[0:1], v[8:9] offset1:30
	v_add_f32_e32 v8, v51, v84
	v_dual_sub_f32 v0, v58, v51 :: v_dual_sub_f32 v1, v64, v84
	v_add_f32_e32 v9, v59, v79
	v_sub_f32_e32 v51, v63, v79
	s_delay_alu instid0(VALU_DEP_4) | instskip(SKIP_3) | instid1(VALU_DEP_4)
	v_fma_f32 v8, -0.5, v8, v4
	v_add_f32_e32 v4, v56, v137
	v_dual_add_f32 v0, v0, v1 :: v_dual_sub_f32 v1, v57, v59
	v_fma_f32 v9, -0.5, v9, v5
	v_fmamk_f32 v57, v86, 0x3f737871, v8
	v_fmac_f32_e32 v8, 0xbf737871, v86
	v_fmac_f32_e32 v48, -0.5, v4
	v_sub_f32_e32 v4, v76, v136
	scratch_load_b32 v76, off, off offset:304 ; 4-byte Folded Reload
	v_fmac_f32_e32 v57, 0xbf167918, v87
	v_fmac_f32_e32 v8, 0x3f167918, v87
	v_fmamk_f32 v5, v69, 0x3f737871, v48
	v_fmac_f32_e32 v48, 0xbf737871, v69
	v_sub_f32_e32 v63, v42, v37
	v_fmac_f32_e32 v57, 0x3e9e377a, v0
	v_fmac_f32_e32 v8, 0x3e9e377a, v0
	v_dual_add_f32 v0, v1, v51 :: v_dual_sub_f32 v1, v62, v56
	v_fmamk_f32 v56, v89, 0xbf737871, v9
	v_fmac_f32_e32 v9, 0x3f737871, v89
	v_sub_f32_e32 v51, v78, v137
	v_fmac_f32_e32 v5, 0xbf167918, v77
	v_fmac_f32_e32 v48, 0x3f167918, v77
	;; [unrolled: 1-line block ×3, first 2 shown]
	v_dual_fmac_f32 v9, 0xbf167918, v90 :: v_dual_sub_f32 v50, v41, v24
	s_delay_alu instid0(VALU_DEP_2) | instskip(NEXT) | instid1(VALU_DEP_2)
	v_fmac_f32_e32 v56, 0x3e9e377a, v0
	v_dual_fmac_f32 v9, 0x3e9e377a, v0 :: v_dual_add_f32 v0, v1, v51
	v_add_f32_e32 v1, v47, v136
	s_delay_alu instid0(VALU_DEP_2) | instskip(NEXT) | instid1(VALU_DEP_2)
	v_fmac_f32_e32 v5, 0x3e9e377a, v0
	v_fmac_f32_e32 v49, -0.5, v1
	v_dual_sub_f32 v1, v60, v47 :: v_dual_fmac_f32 v48, 0x3e9e377a, v0
	s_delay_alu instid0(VALU_DEP_1) | instskip(SKIP_1) | instid1(VALU_DEP_2)
	v_dual_add_f32 v0, v1, v4 :: v_dual_fmamk_f32 v1, v68, 0xbf737871, v49
	v_dual_fmac_f32 v49, 0x3f737871, v68 :: v_dual_sub_f32 v68, v43, v39
	v_fmac_f32_e32 v1, 0x3f167918, v71
	s_delay_alu instid0(VALU_DEP_2) | instskip(NEXT) | instid1(VALU_DEP_2)
	v_fmac_f32_e32 v49, 0xbf167918, v71
	v_fmac_f32_e32 v1, 0x3e9e377a, v0
	s_delay_alu instid0(VALU_DEP_2) | instskip(NEXT) | instid1(VALU_DEP_2)
	v_fmac_f32_e32 v49, 0x3e9e377a, v0
	v_mul_f32_e32 v47, 0xbf737871, v1
	v_mul_f32_e32 v51, 0x3e9e377a, v1
	s_delay_alu instid0(VALU_DEP_3) | instskip(SKIP_1) | instid1(VALU_DEP_4)
	v_mul_f32_e32 v58, 0xbf737871, v49
	v_mul_f32_e32 v49, 0xbe9e377a, v49
	v_fmac_f32_e32 v47, 0x3e9e377a, v5
	s_delay_alu instid0(VALU_DEP_4) | instskip(NEXT) | instid1(VALU_DEP_4)
	v_fmac_f32_e32 v51, 0x3f737871, v5
	v_fmac_f32_e32 v58, 0xbe9e377a, v48
	s_delay_alu instid0(VALU_DEP_4) | instskip(SKIP_3) | instid1(VALU_DEP_4)
	v_fmac_f32_e32 v49, 0x3f737871, v48
	v_mul_f32_e32 v48, 0xbf4f1bbd, v66
	v_add_f32_e32 v0, v57, v47
	v_add_f32_e32 v1, v56, v51
	v_dual_add_f32 v4, v8, v58 :: v_dual_add_f32 v5, v9, v49
	s_delay_alu instid0(VALU_DEP_4)
	v_fmac_f32_e32 v48, 0x3f167918, v65
	ds_store_2addr_b64 v147, v[0:1], v[4:5] offset0:60 offset1:90
	v_dual_sub_f32 v0, v88, v92 :: v_dual_sub_f32 v1, v91, v93
	v_dual_add_f32 v4, v81, v46 :: v_dual_add_f32 v5, v82, v48
	v_add_nc_u32_e32 v91, 0x1400, v247
	ds_store_2addr_b64 v147, v[4:5], v[0:1] offset0:120 offset1:150
	v_dual_sub_f32 v0, v83, v70 :: v_dual_sub_f32 v1, v85, v80
	v_sub_f32_e32 v4, v57, v47
	v_sub_f32_e32 v5, v56, v51
	v_dual_sub_f32 v51, v35, v31 :: v_dual_sub_f32 v56, v36, v25
	v_sub_f32_e32 v57, v32, v30
	ds_store_2addr_b64 v147, v[0:1], v[4:5] offset0:180 offset1:210
	v_sub_f32_e32 v0, v8, v58
	scratch_load_b32 v8, off, off offset:296 ; 4-byte Folded Reload
	v_sub_f32_e32 v1, v9, v49
	v_dual_sub_f32 v4, v81, v46 :: v_dual_sub_f32 v5, v82, v48
	s_waitcnt vmcnt(0)
	ds_store_2addr_b64 v8, v[0:1], v[4:5] offset0:112 offset1:142
	v_sub_f32_e32 v0, v44, v43
	v_sub_f32_e32 v1, v34, v39
	v_dual_add_f32 v5, v42, v37 :: v_dual_add_f32 v4, v40, v36
	s_delay_alu instid0(VALU_DEP_2) | instskip(SKIP_2) | instid1(VALU_DEP_4)
	v_add_f32_e32 v8, v0, v1
	v_sub_f32_e32 v0, v45, v42
	v_sub_f32_e32 v1, v33, v37
	v_fma_f32 v65, -0.5, v5, v7
	v_add_f32_e32 v4, v4, v32
	s_delay_alu instid0(VALU_DEP_3) | instskip(SKIP_1) | instid1(VALU_DEP_3)
	v_dual_add_f32 v9, v0, v1 :: v_dual_sub_f32 v0, v41, v35
	v_sub_f32_e32 v1, v24, v31
	v_add_f32_e32 v4, v4, v30
	s_delay_alu instid0(VALU_DEP_2) | instskip(SKIP_1) | instid1(VALU_DEP_3)
	v_add_f32_e32 v46, v0, v1
	v_dual_sub_f32 v0, v36, v32 :: v_dual_sub_f32 v1, v25, v30
	v_add_f32_e32 v71, v4, v25
	s_delay_alu instid0(VALU_DEP_2) | instskip(NEXT) | instid1(VALU_DEP_1)
	v_dual_add_f32 v47, v0, v1 :: v_dual_add_f32 v0, v35, v31
	v_fma_f32 v48, -0.5, v0, v38
	v_add_f32_e32 v0, v32, v30
	s_delay_alu instid0(VALU_DEP_2) | instskip(NEXT) | instid1(VALU_DEP_2)
	v_fmamk_f32 v1, v56, 0xbf737871, v48
	v_fma_f32 v49, -0.5, v0, v40
	v_fmac_f32_e32 v48, 0x3f737871, v56
	s_delay_alu instid0(VALU_DEP_3) | instskip(NEXT) | instid1(VALU_DEP_3)
	v_fmac_f32_e32 v1, 0xbf167918, v57
	v_fmamk_f32 v0, v50, 0x3f737871, v49
	v_fmac_f32_e32 v49, 0xbf737871, v50
	s_delay_alu instid0(VALU_DEP_4) | instskip(NEXT) | instid1(VALU_DEP_4)
	v_fmac_f32_e32 v48, 0x3f167918, v57
	v_fmac_f32_e32 v1, 0x3e9e377a, v46
	s_delay_alu instid0(VALU_DEP_4) | instskip(NEXT) | instid1(VALU_DEP_4)
	v_fmac_f32_e32 v0, 0x3f167918, v51
	v_fmac_f32_e32 v49, 0xbf167918, v51
	s_delay_alu instid0(VALU_DEP_4) | instskip(NEXT) | instid1(VALU_DEP_3)
	v_fmac_f32_e32 v48, 0x3e9e377a, v46
	v_fmac_f32_e32 v0, 0x3e9e377a, v47
	s_delay_alu instid0(VALU_DEP_3) | instskip(NEXT) | instid1(VALU_DEP_2)
	v_fmac_f32_e32 v49, 0x3e9e377a, v47
	v_mul_f32_e32 v58, 0xbf167918, v0
	s_delay_alu instid0(VALU_DEP_1) | instskip(NEXT) | instid1(VALU_DEP_1)
	v_dual_mul_f32 v59, 0x3f4f1bbd, v0 :: v_dual_fmac_f32 v58, 0x3f4f1bbd, v1
	v_fmac_f32_e32 v59, 0x3f167918, v1
	v_add_f32_e32 v1, v43, v39
	s_delay_alu instid0(VALU_DEP_1) | instskip(NEXT) | instid1(VALU_DEP_1)
	v_fma_f32 v60, -0.5, v1, v6
	v_dual_add_f32 v1, v38, v41 :: v_dual_fmamk_f32 v62, v61, 0xbf737871, v60
	s_delay_alu instid0(VALU_DEP_1) | instskip(NEXT) | instid1(VALU_DEP_2)
	v_dual_add_f32 v1, v1, v35 :: v_dual_fmac_f32 v60, 0x3f737871, v61
	v_fmac_f32_e32 v62, 0xbf167918, v63
	s_delay_alu instid0(VALU_DEP_2) | instskip(SKIP_1) | instid1(VALU_DEP_4)
	v_dual_add_f32 v1, v1, v31 :: v_dual_add_f32 v0, v6, v44
	v_sub_f32_e32 v66, v44, v34
	v_fmac_f32_e32 v60, 0x3f167918, v63
	s_delay_alu instid0(VALU_DEP_4) | instskip(NEXT) | instid1(VALU_DEP_4)
	v_fmac_f32_e32 v62, 0x3e9e377a, v8
	v_add_f32_e32 v70, v1, v24
	s_delay_alu instid0(VALU_DEP_4) | instskip(SKIP_1) | instid1(VALU_DEP_4)
	v_dual_add_f32 v0, v0, v43 :: v_dual_fmamk_f32 v67, v66, 0x3f737871, v65
	v_fmac_f32_e32 v65, 0xbf737871, v66
	v_add_f32_e32 v4, v62, v58
	v_fmac_f32_e32 v60, 0x3e9e377a, v8
	s_delay_alu instid0(VALU_DEP_4) | instskip(NEXT) | instid1(VALU_DEP_4)
	v_dual_add_f32 v0, v0, v39 :: v_dual_fmac_f32 v67, 0x3f167918, v68
	v_dual_fmac_f32 v65, 0xbf167918, v68 :: v_dual_mul_f32 v8, 0xbf167918, v49
	s_delay_alu instid0(VALU_DEP_2) | instskip(SKIP_1) | instid1(VALU_DEP_4)
	v_add_f32_e32 v64, v0, v34
	v_add_f32_e32 v0, v7, v45
	v_fmac_f32_e32 v67, 0x3e9e377a, v9
	s_delay_alu instid0(VALU_DEP_4) | instskip(SKIP_1) | instid1(VALU_DEP_3)
	v_fmac_f32_e32 v65, 0x3e9e377a, v9
	v_dual_mul_f32 v9, 0xbf4f1bbd, v49 :: v_dual_fmac_f32 v8, 0xbf4f1bbd, v48
	v_dual_add_f32 v0, v0, v42 :: v_dual_add_f32 v5, v67, v59
	s_delay_alu instid0(VALU_DEP_1) | instskip(NEXT) | instid1(VALU_DEP_1)
	v_dual_fmac_f32 v9, 0x3f167918, v48 :: v_dual_add_f32 v0, v0, v37
	v_add_f32_e32 v69, v0, v33
	s_delay_alu instid0(VALU_DEP_1)
	v_dual_add_f32 v0, v64, v70 :: v_dual_add_f32 v1, v69, v71
	ds_store_2addr_b64 v76, v[0:1], v[4:5] offset1:30
	v_dual_add_f32 v4, v44, v34 :: v_dual_add_f32 v5, v45, v33
	v_sub_f32_e32 v0, v43, v44
	v_sub_f32_e32 v1, v39, v34
	;; [unrolled: 1-line block ×3, first 2 shown]
	s_delay_alu instid0(VALU_DEP_4) | instskip(SKIP_1) | instid1(VALU_DEP_4)
	v_fma_f32 v6, -0.5, v4, v6
	v_dual_fmac_f32 v7, -0.5, v5 :: v_dual_add_f32 v4, v41, v24
	v_add_f32_e32 v0, v0, v1
	s_delay_alu instid0(VALU_DEP_3) | instskip(SKIP_1) | instid1(VALU_DEP_4)
	v_dual_sub_f32 v1, v42, v45 :: v_dual_fmamk_f32 v34, v63, 0x3f737871, v6
	v_dual_fmac_f32 v6, 0xbf737871, v63 :: v_dual_sub_f32 v5, v31, v24
	v_fmamk_f32 v24, v68, 0xbf737871, v7
	v_fmac_f32_e32 v7, 0x3f737871, v68
	s_delay_alu instid0(VALU_DEP_4) | instskip(NEXT) | instid1(VALU_DEP_4)
	v_fmac_f32_e32 v34, 0xbf167918, v61
	v_fmac_f32_e32 v6, 0x3f167918, v61
	v_fmac_f32_e32 v38, -0.5, v4
	v_fmac_f32_e32 v24, 0x3f167918, v66
	v_fmac_f32_e32 v7, 0xbf167918, v66
	;; [unrolled: 1-line block ×4, first 2 shown]
	v_add_f32_e32 v0, v1, v33
	v_sub_f32_e32 v1, v35, v41
	v_dual_sub_f32 v4, v30, v25 :: v_dual_sub_f32 v33, v16, v12
	s_delay_alu instid0(VALU_DEP_3) | instskip(NEXT) | instid1(VALU_DEP_3)
	v_dual_sub_f32 v37, v29, v14 :: v_dual_fmac_f32 v24, 0x3e9e377a, v0
	v_dual_fmac_f32 v7, 0x3e9e377a, v0 :: v_dual_add_f32 v0, v1, v5
	v_add_f32_e32 v1, v36, v25
	v_fmamk_f32 v5, v57, 0x3f737871, v38
	v_fmac_f32_e32 v38, 0xbf737871, v57
	v_dual_sub_f32 v42, v28, v15 :: v_dual_sub_f32 v39, v26, v18
	s_delay_alu instid0(VALU_DEP_4) | instskip(NEXT) | instid1(VALU_DEP_4)
	v_dual_fmac_f32 v40, -0.5, v1 :: v_dual_sub_f32 v1, v32, v36
	v_fmac_f32_e32 v5, 0xbf167918, v56
	s_delay_alu instid0(VALU_DEP_4) | instskip(NEXT) | instid1(VALU_DEP_2)
	v_fmac_f32_e32 v38, 0x3f167918, v56
	v_dual_sub_f32 v44, v27, v19 :: v_dual_fmac_f32 v5, 0x3e9e377a, v0
	s_delay_alu instid0(VALU_DEP_2) | instskip(SKIP_2) | instid1(VALU_DEP_2)
	v_fmac_f32_e32 v38, 0x3e9e377a, v0
	v_dual_add_f32 v0, v1, v4 :: v_dual_fmamk_f32 v1, v51, 0xbf737871, v40
	v_fmac_f32_e32 v40, 0x3f737871, v51
	v_fmac_f32_e32 v1, 0x3f167918, v50
	s_delay_alu instid0(VALU_DEP_2) | instskip(NEXT) | instid1(VALU_DEP_2)
	v_fmac_f32_e32 v40, 0xbf167918, v50
	v_fmac_f32_e32 v1, 0x3e9e377a, v0
	s_delay_alu instid0(VALU_DEP_2) | instskip(NEXT) | instid1(VALU_DEP_2)
	v_fmac_f32_e32 v40, 0x3e9e377a, v0
	v_mul_f32_e32 v25, 0xbf737871, v1
	v_mul_f32_e32 v30, 0x3e9e377a, v1
	s_delay_alu instid0(VALU_DEP_3) | instskip(SKIP_1) | instid1(VALU_DEP_4)
	v_mul_f32_e32 v31, 0xbf737871, v40
	v_mul_f32_e32 v32, 0xbe9e377a, v40
	v_fmac_f32_e32 v25, 0x3e9e377a, v5
	s_delay_alu instid0(VALU_DEP_4) | instskip(NEXT) | instid1(VALU_DEP_4)
	v_fmac_f32_e32 v30, 0x3f737871, v5
	v_fmac_f32_e32 v31, 0xbe9e377a, v38
	s_delay_alu instid0(VALU_DEP_4) | instskip(NEXT) | instid1(VALU_DEP_3)
	v_fmac_f32_e32 v32, 0x3f737871, v38
	v_dual_add_f32 v0, v34, v25 :: v_dual_add_f32 v1, v24, v30
	s_delay_alu instid0(VALU_DEP_2)
	v_dual_add_f32 v4, v6, v31 :: v_dual_add_f32 v5, v7, v32
	ds_store_2addr_b64 v76, v[0:1], v[4:5] offset0:60 offset1:90
	v_dual_sub_f32 v0, v64, v70 :: v_dual_sub_f32 v1, v69, v71
	v_dual_add_f32 v4, v60, v8 :: v_dual_add_f32 v5, v65, v9
	ds_store_2addr_b64 v76, v[4:5], v[0:1] offset0:120 offset1:150
	v_dual_sub_f32 v0, v62, v58 :: v_dual_sub_f32 v1, v67, v59
	v_dual_sub_f32 v4, v34, v25 :: v_dual_sub_f32 v5, v24, v30
	v_sub_f32_e32 v30, v23, v10
	ds_store_2addr_b64 v76, v[0:1], v[4:5] offset0:180 offset1:210
	v_sub_f32_e32 v0, v6, v31
	scratch_load_b32 v6, off, off offset:292 ; 4-byte Folded Reload
	v_sub_f32_e32 v1, v7, v32
	v_dual_sub_f32 v4, v60, v8 :: v_dual_sub_f32 v5, v65, v9
	v_dual_sub_f32 v31, v17, v13 :: v_dual_sub_f32 v32, v20, v11
	s_waitcnt vmcnt(0)
	ds_store_2addr_b64 v6, v[0:1], v[4:5] offset0:112 offset1:142
	v_sub_f32_e32 v0, v28, v27
	v_sub_f32_e32 v1, v15, v19
	v_add_f32_e32 v5, v26, v18
	v_add_f32_e32 v4, v22, v20
	s_delay_alu instid0(VALU_DEP_3) | instskip(SKIP_4) | instid1(VALU_DEP_3)
	v_add_f32_e32 v6, v0, v1
	v_sub_f32_e32 v0, v29, v26
	v_sub_f32_e32 v1, v14, v18
	v_fma_f32 v41, -0.5, v5, v3
	v_add_f32_e32 v4, v4, v16
	v_add_f32_e32 v7, v0, v1
	v_sub_f32_e32 v0, v23, v17
	v_sub_f32_e32 v1, v10, v13
	s_delay_alu instid0(VALU_DEP_4) | instskip(NEXT) | instid1(VALU_DEP_2)
	v_dual_fmamk_f32 v43, v42, 0x3f737871, v41 :: v_dual_add_f32 v4, v4, v12
	v_dual_fmac_f32 v41, 0xbf737871, v42 :: v_dual_add_f32 v8, v0, v1
	v_sub_f32_e32 v0, v20, v16
	v_sub_f32_e32 v1, v11, v12
	s_delay_alu instid0(VALU_DEP_4) | instskip(SKIP_2) | instid1(VALU_DEP_4)
	v_fmac_f32_e32 v43, 0x3f167918, v44
	v_add_f32_e32 v47, v4, v11
	v_fmac_f32_e32 v41, 0xbf167918, v44
	v_add_f32_e32 v9, v0, v1
	s_delay_alu instid0(VALU_DEP_4) | instskip(NEXT) | instid1(VALU_DEP_3)
	v_dual_add_f32 v0, v17, v13 :: v_dual_fmac_f32 v43, 0x3e9e377a, v7
	v_fmac_f32_e32 v41, 0x3e9e377a, v7
	s_delay_alu instid0(VALU_DEP_2) | instskip(SKIP_1) | instid1(VALU_DEP_2)
	v_fma_f32 v24, -0.5, v0, v21
	v_add_f32_e32 v0, v16, v12
	v_fmamk_f32 v1, v32, 0xbf737871, v24
	s_delay_alu instid0(VALU_DEP_2) | instskip(SKIP_1) | instid1(VALU_DEP_3)
	v_fma_f32 v25, -0.5, v0, v22
	v_fmac_f32_e32 v24, 0x3f737871, v32
	v_fmac_f32_e32 v1, 0xbf167918, v33
	s_delay_alu instid0(VALU_DEP_3) | instskip(SKIP_1) | instid1(VALU_DEP_4)
	v_fmamk_f32 v0, v30, 0x3f737871, v25
	v_fmac_f32_e32 v25, 0xbf737871, v30
	v_fmac_f32_e32 v24, 0x3f167918, v33
	s_delay_alu instid0(VALU_DEP_4) | instskip(NEXT) | instid1(VALU_DEP_4)
	v_fmac_f32_e32 v1, 0x3e9e377a, v8
	v_fmac_f32_e32 v0, 0x3f167918, v31
	s_delay_alu instid0(VALU_DEP_4) | instskip(NEXT) | instid1(VALU_DEP_4)
	v_fmac_f32_e32 v25, 0xbf167918, v31
	v_fmac_f32_e32 v24, 0x3e9e377a, v8
	s_delay_alu instid0(VALU_DEP_3) | instskip(NEXT) | instid1(VALU_DEP_3)
	v_fmac_f32_e32 v0, 0x3e9e377a, v9
	v_fmac_f32_e32 v25, 0x3e9e377a, v9
	s_delay_alu instid0(VALU_DEP_2) | instskip(SKIP_1) | instid1(VALU_DEP_3)
	v_mul_f32_e32 v34, 0xbf167918, v0
	v_mul_f32_e32 v35, 0x3f4f1bbd, v0
	v_dual_add_f32 v0, v2, v28 :: v_dual_mul_f32 v7, 0xbf4f1bbd, v25
	s_delay_alu instid0(VALU_DEP_3) | instskip(NEXT) | instid1(VALU_DEP_2)
	v_fmac_f32_e32 v34, 0x3f4f1bbd, v1
	v_dual_fmac_f32 v35, 0x3f167918, v1 :: v_dual_add_f32 v0, v0, v27
	v_add_f32_e32 v1, v27, v19
	s_delay_alu instid0(VALU_DEP_4) | instskip(NEXT) | instid1(VALU_DEP_3)
	v_fmac_f32_e32 v7, 0x3f167918, v24
	v_add_f32_e32 v5, v43, v35
	s_delay_alu instid0(VALU_DEP_4) | instskip(NEXT) | instid1(VALU_DEP_4)
	v_add_f32_e32 v0, v0, v19
	v_fma_f32 v36, -0.5, v1, v2
	v_add_f32_e32 v1, v21, v23
	s_delay_alu instid0(VALU_DEP_3) | instskip(SKIP_1) | instid1(VALU_DEP_4)
	v_add_f32_e32 v40, v0, v15
	v_add_f32_e32 v0, v3, v29
	v_fmamk_f32 v38, v37, 0xbf737871, v36
	s_delay_alu instid0(VALU_DEP_4) | instskip(SKIP_1) | instid1(VALU_DEP_4)
	v_add_f32_e32 v1, v1, v17
	v_fmac_f32_e32 v36, 0x3f737871, v37
	v_add_f32_e32 v0, v0, v26
	s_delay_alu instid0(VALU_DEP_3) | instskip(NEXT) | instid1(VALU_DEP_3)
	v_dual_fmac_f32 v38, 0xbf167918, v39 :: v_dual_add_f32 v1, v1, v13
	v_fmac_f32_e32 v36, 0x3f167918, v39
	s_delay_alu instid0(VALU_DEP_3) | instskip(NEXT) | instid1(VALU_DEP_3)
	v_add_f32_e32 v0, v0, v18
	v_fmac_f32_e32 v38, 0x3e9e377a, v6
	s_delay_alu instid0(VALU_DEP_4) | instskip(NEXT) | instid1(VALU_DEP_4)
	v_add_f32_e32 v46, v1, v10
	v_fmac_f32_e32 v36, 0x3e9e377a, v6
	s_delay_alu instid0(VALU_DEP_4) | instskip(NEXT) | instid1(VALU_DEP_4)
	v_dual_mul_f32 v6, 0xbf167918, v25 :: v_dual_add_f32 v45, v0, v14
	v_add_f32_e32 v4, v38, v34
	s_delay_alu instid0(VALU_DEP_4) | instskip(NEXT) | instid1(VALU_DEP_3)
	v_add_f32_e32 v0, v40, v46
	v_dual_fmac_f32 v6, 0xbf4f1bbd, v24 :: v_dual_add_f32 v1, v45, v47
	ds_store_2addr_b64 v249, v[0:1], v[4:5] offset1:30
	v_dual_add_f32 v4, v28, v15 :: v_dual_add_f32 v5, v29, v14
	v_sub_f32_e32 v0, v27, v28
	v_dual_sub_f32 v1, v19, v15 :: v_dual_sub_f32 v14, v18, v14
	s_delay_alu instid0(VALU_DEP_3) | instskip(NEXT) | instid1(VALU_DEP_4)
	v_fma_f32 v2, -0.5, v4, v2
	v_dual_fmac_f32 v3, -0.5, v5 :: v_dual_add_f32 v4, v23, v10
	s_delay_alu instid0(VALU_DEP_3) | instskip(SKIP_1) | instid1(VALU_DEP_4)
	v_add_f32_e32 v0, v0, v1
	v_sub_f32_e32 v1, v26, v29
	v_fmamk_f32 v15, v39, 0x3f737871, v2
	v_dual_fmac_f32 v2, 0xbf737871, v39 :: v_dual_sub_f32 v5, v13, v10
	v_fmamk_f32 v10, v44, 0xbf737871, v3
	v_fmac_f32_e32 v3, 0x3f737871, v44
	s_delay_alu instid0(VALU_DEP_4) | instskip(NEXT) | instid1(VALU_DEP_4)
	v_fmac_f32_e32 v15, 0xbf167918, v37
	v_dual_fmac_f32 v2, 0x3f167918, v37 :: v_dual_fmac_f32 v21, -0.5, v4
	s_delay_alu instid0(VALU_DEP_4) | instskip(NEXT) | instid1(VALU_DEP_4)
	v_fmac_f32_e32 v10, 0x3f167918, v42
	v_fmac_f32_e32 v3, 0xbf167918, v42
	s_delay_alu instid0(VALU_DEP_4) | instskip(NEXT) | instid1(VALU_DEP_4)
	v_fmac_f32_e32 v15, 0x3e9e377a, v0
	v_fmac_f32_e32 v2, 0x3e9e377a, v0
	v_add_f32_e32 v0, v1, v14
	v_sub_f32_e32 v1, v17, v23
	v_sub_f32_e32 v4, v12, v11
	s_delay_alu instid0(VALU_DEP_3) | instskip(NEXT) | instid1(VALU_DEP_3)
	v_fmac_f32_e32 v10, 0x3e9e377a, v0
	v_dual_fmac_f32 v3, 0x3e9e377a, v0 :: v_dual_add_f32 v0, v1, v5
	v_add_f32_e32 v1, v20, v11
	v_fmamk_f32 v5, v33, 0x3f737871, v21
	v_fmac_f32_e32 v21, 0xbf737871, v33
	s_delay_alu instid0(VALU_DEP_3) | instskip(NEXT) | instid1(VALU_DEP_3)
	v_dual_fmac_f32 v22, -0.5, v1 :: v_dual_sub_f32 v1, v16, v20
	v_fmac_f32_e32 v5, 0xbf167918, v32
	s_delay_alu instid0(VALU_DEP_3) | instskip(NEXT) | instid1(VALU_DEP_2)
	v_fmac_f32_e32 v21, 0x3f167918, v32
	v_fmac_f32_e32 v5, 0x3e9e377a, v0
	s_delay_alu instid0(VALU_DEP_2) | instskip(SKIP_2) | instid1(VALU_DEP_2)
	v_fmac_f32_e32 v21, 0x3e9e377a, v0
	v_dual_add_f32 v0, v1, v4 :: v_dual_fmamk_f32 v1, v31, 0xbf737871, v22
	v_fmac_f32_e32 v22, 0x3f737871, v31
	v_fmac_f32_e32 v1, 0x3f167918, v30
	s_delay_alu instid0(VALU_DEP_2) | instskip(NEXT) | instid1(VALU_DEP_2)
	v_fmac_f32_e32 v22, 0xbf167918, v30
	v_fmac_f32_e32 v1, 0x3e9e377a, v0
	s_delay_alu instid0(VALU_DEP_2) | instskip(NEXT) | instid1(VALU_DEP_2)
	v_fmac_f32_e32 v22, 0x3e9e377a, v0
	v_mul_f32_e32 v11, 0xbf737871, v1
	v_mul_f32_e32 v12, 0x3e9e377a, v1
	s_delay_alu instid0(VALU_DEP_3) | instskip(SKIP_1) | instid1(VALU_DEP_4)
	v_mul_f32_e32 v13, 0xbf737871, v22
	v_mul_f32_e32 v14, 0xbe9e377a, v22
	v_fmac_f32_e32 v11, 0x3e9e377a, v5
	s_delay_alu instid0(VALU_DEP_4) | instskip(NEXT) | instid1(VALU_DEP_4)
	v_fmac_f32_e32 v12, 0x3f737871, v5
	v_fmac_f32_e32 v13, 0xbe9e377a, v21
	s_delay_alu instid0(VALU_DEP_4) | instskip(NEXT) | instid1(VALU_DEP_3)
	v_fmac_f32_e32 v14, 0x3f737871, v21
	v_dual_add_f32 v0, v15, v11 :: v_dual_add_f32 v1, v10, v12
	s_delay_alu instid0(VALU_DEP_2)
	v_dual_add_f32 v4, v2, v13 :: v_dual_add_f32 v5, v3, v14
	ds_store_2addr_b64 v249, v[0:1], v[4:5] offset0:60 offset1:90
	v_dual_sub_f32 v0, v40, v46 :: v_dual_sub_f32 v1, v45, v47
	v_dual_add_f32 v4, v36, v6 :: v_dual_add_f32 v5, v41, v7
	ds_store_2addr_b64 v249, v[4:5], v[0:1] offset0:120 offset1:150
	v_dual_sub_f32 v0, v38, v34 :: v_dual_sub_f32 v1, v43, v35
	v_dual_sub_f32 v4, v15, v11 :: v_dual_sub_f32 v5, v10, v12
	ds_store_2addr_b64 v249, v[0:1], v[4:5] offset0:180 offset1:210
	scratch_load_b32 v4, off, off offset:300 ; 4-byte Folded Reload
	v_dual_sub_f32 v1, v3, v14 :: v_dual_sub_f32 v0, v2, v13
	v_dual_sub_f32 v2, v36, v6 :: v_dual_sub_f32 v3, v41, v7
	s_waitcnt vmcnt(0)
	ds_store_2addr_b64 v4, v[0:1], v[2:3] offset0:112 offset1:142
	s_waitcnt lgkmcnt(0)
	s_barrier
	buffer_gl0_inv
	ds_load_2addr_b64 v[0:3], v189 offset0:112 offset1:212
	s_waitcnt lgkmcnt(0)
	v_mul_f32_e32 v28, v242, v1
	s_delay_alu instid0(VALU_DEP_1) | instskip(SKIP_1) | instid1(VALU_DEP_1)
	v_fmac_f32_e32 v28, v241, v0
	v_mul_f32_e32 v0, v242, v0
	v_fma_f32 v31, v241, v1, -v0
	v_mul_f32_e32 v0, v244, v2
	s_delay_alu instid0(VALU_DEP_1) | instskip(SKIP_1) | instid1(VALU_DEP_1)
	v_fma_f32 v25, v243, v3, -v0
	v_mul_f32_e32 v24, v244, v3
	v_fmac_f32_e32 v24, v243, v2
	ds_load_2addr_b64 v[0:3], v218 offset0:40 offset1:140
	s_waitcnt lgkmcnt(0)
	v_mul_f32_e32 v14, v194, v3
	v_mul_f32_e32 v26, v135, v1
	s_delay_alu instid0(VALU_DEP_2) | instskip(SKIP_1) | instid1(VALU_DEP_3)
	v_fmac_f32_e32 v14, v193, v2
	v_mul_f32_e32 v2, v194, v2
	v_fmac_f32_e32 v26, v134, v0
	v_mul_f32_e32 v0, v135, v0
	s_delay_alu instid0(VALU_DEP_3) | instskip(NEXT) | instid1(VALU_DEP_2)
	v_fma_f32 v15, v193, v3, -v2
	v_fma_f32 v27, v134, v1, -v0
	ds_load_2addr_b64 v[0:3], v164 offset0:152 offset1:252
	s_waitcnt lgkmcnt(0)
	v_mul_f32_e32 v29, v133, v3
	s_delay_alu instid0(VALU_DEP_1) | instskip(SKIP_1) | instid1(VALU_DEP_2)
	v_dual_mul_f32 v38, v125, v1 :: v_dual_fmac_f32 v29, v132, v2
	v_mul_f32_e32 v2, v133, v2
	v_fmac_f32_e32 v38, v124, v0
	v_mul_f32_e32 v0, v125, v0
	s_delay_alu instid0(VALU_DEP_3) | instskip(NEXT) | instid1(VALU_DEP_2)
	v_fma_f32 v30, v132, v3, -v2
	v_fma_f32 v39, v124, v1, -v0
	ds_load_2addr_b64 v[0:3], v160 offset0:96 offset1:196
	s_waitcnt lgkmcnt(0)
	v_mul_f32_e32 v40, v127, v3
	v_mul_f32_e32 v16, v119, v1
	s_delay_alu instid0(VALU_DEP_2) | instskip(SKIP_1) | instid1(VALU_DEP_3)
	v_fmac_f32_e32 v40, v126, v2
	v_mul_f32_e32 v2, v127, v2
	v_fmac_f32_e32 v16, v118, v0
	v_mul_f32_e32 v0, v119, v0
	s_delay_alu instid0(VALU_DEP_3) | instskip(NEXT) | instid1(VALU_DEP_2)
	v_fma_f32 v42, v126, v3, -v2
	v_fma_f32 v17, v118, v1, -v0
	ds_load_2addr_b64 v[0:3], v159 offset0:80 offset1:180
	s_waitcnt lgkmcnt(0)
	v_mul_f32_e32 v18, v117, v3
	v_mul_f32_e32 v32, v131, v1
	s_delay_alu instid0(VALU_DEP_2) | instskip(SKIP_1) | instid1(VALU_DEP_3)
	v_fmac_f32_e32 v18, v116, v2
	;; [unrolled: 12-line block ×3, first 2 shown]
	v_mul_f32_e32 v2, v129, v2
	v_fmac_f32_e32 v46, v112, v0
	v_mul_f32_e32 v0, v113, v0
	s_delay_alu instid0(VALU_DEP_3) | instskip(NEXT) | instid1(VALU_DEP_2)
	v_fma_f32 v35, v128, v3, -v2
	v_fma_f32 v47, v112, v1, -v0
	ds_load_2addr_b64 v[0:3], v217 offset0:8 offset1:108
	s_waitcnt lgkmcnt(0)
	v_mul_f32_e32 v45, v115, v3
	s_delay_alu instid0(VALU_DEP_1) | instskip(SKIP_1) | instid1(VALU_DEP_2)
	v_dual_mul_f32 v20, v107, v1 :: v_dual_fmac_f32 v45, v114, v2
	v_mul_f32_e32 v2, v115, v2
	v_fmac_f32_e32 v20, v106, v0
	v_mul_f32_e32 v0, v107, v0
	s_delay_alu instid0(VALU_DEP_3) | instskip(NEXT) | instid1(VALU_DEP_2)
	v_fma_f32 v48, v114, v3, -v2
	v_fma_f32 v21, v106, v1, -v0
	ds_load_2addr_b64 v[0:3], v250 offset0:120 offset1:220
	s_waitcnt lgkmcnt(0)
	v_mul_f32_e32 v22, v105, v3
	v_mul_f32_e32 v36, v123, v1
	s_delay_alu instid0(VALU_DEP_2) | instskip(SKIP_1) | instid1(VALU_DEP_3)
	v_fmac_f32_e32 v22, v104, v2
	v_mul_f32_e32 v2, v105, v2
	v_fmac_f32_e32 v36, v122, v0
	v_mul_f32_e32 v0, v123, v0
	s_delay_alu instid0(VALU_DEP_3) | instskip(NEXT) | instid1(VALU_DEP_2)
	v_fma_f32 v23, v104, v3, -v2
	v_fma_f32 v37, v122, v1, -v0
	ds_load_2addr_b64 v[0:3], v155 offset0:104 offset1:204
	v_sub_f32_e32 v77, v23, v19
	s_waitcnt lgkmcnt(0)
	v_mul_f32_e32 v43, v121, v3
	v_mul_f32_e32 v51, v101, v1
	s_delay_alu instid0(VALU_DEP_2) | instskip(NEXT) | instid1(VALU_DEP_2)
	v_fmac_f32_e32 v43, v120, v2
	v_dual_mul_f32 v2, v121, v2 :: v_dual_fmac_f32 v51, v100, v0
	v_mul_f32_e32 v0, v101, v0
	s_delay_alu instid0(VALU_DEP_2) | instskip(NEXT) | instid1(VALU_DEP_2)
	v_fma_f32 v44, v120, v3, -v2
	v_fma_f32 v56, v100, v1, -v0
	ds_load_2addr_b64 v[0:3], v246 offset0:48 offset1:148
	s_waitcnt lgkmcnt(0)
	v_mul_f32_e32 v50, v103, v3
	v_mul_f32_e32 v64, v75, v1
	s_delay_alu instid0(VALU_DEP_2) | instskip(SKIP_1) | instid1(VALU_DEP_3)
	v_fmac_f32_e32 v50, v102, v2
	v_mul_f32_e32 v2, v103, v2
	v_fmac_f32_e32 v64, v74, v0
	v_dual_mul_f32 v0, v75, v0 :: v_dual_sub_f32 v75, v22, v18
	s_delay_alu instid0(VALU_DEP_3) | instskip(NEXT) | instid1(VALU_DEP_3)
	v_fma_f32 v57, v102, v3, -v2
	v_sub_f32_e32 v85, v64, v20
	s_delay_alu instid0(VALU_DEP_3) | instskip(SKIP_4) | instid1(VALU_DEP_1)
	v_fma_f32 v65, v74, v1, -v0
	ds_load_2addr_b64 v[0:3], v245 offset0:32 offset1:132
	v_sub_f32_e32 v82, v65, v21
	s_waitcnt lgkmcnt(0)
	v_dual_mul_f32 v66, v73, v3 :: v_dual_mul_f32 v41, v111, v1
	v_fmac_f32_e32 v66, v72, v2
	s_delay_alu instid0(VALU_DEP_2) | instskip(SKIP_1) | instid1(VALU_DEP_3)
	v_dual_mul_f32 v2, v73, v2 :: v_dual_fmac_f32 v41, v110, v0
	v_mul_f32_e32 v0, v111, v0
	v_sub_f32_e32 v74, v66, v14
	s_delay_alu instid0(VALU_DEP_3) | instskip(NEXT) | instid1(VALU_DEP_3)
	v_fma_f32 v67, v72, v3, -v2
	v_fma_f32 v49, v110, v1, -v0
	ds_load_2addr_b64 v[0:3], v191 offset0:144 offset1:244
	v_sub_f32_e32 v76, v67, v15
	v_sub_f32_e32 v86, v49, v27
	s_waitcnt lgkmcnt(0)
	v_mul_f32_e32 v60, v109, v3
	v_mul_f32_e32 v62, v97, v1
	s_delay_alu instid0(VALU_DEP_2) | instskip(SKIP_1) | instid1(VALU_DEP_3)
	v_fmac_f32_e32 v60, v108, v2
	v_mul_f32_e32 v2, v109, v2
	v_fmac_f32_e32 v62, v96, v0
	v_mul_f32_e32 v0, v97, v0
	s_delay_alu instid0(VALU_DEP_3) | instskip(NEXT) | instid1(VALU_DEP_2)
	v_fma_f32 v61, v108, v3, -v2
	v_fma_f32 v63, v96, v1, -v0
	ds_load_2addr_b64 v[0:3], v195 offset0:88 offset1:188
	s_waitcnt lgkmcnt(0)
	v_mul_f32_e32 v58, v99, v3
	v_mul_f32_e32 v68, v55, v1
	s_delay_alu instid0(VALU_DEP_2) | instskip(SKIP_1) | instid1(VALU_DEP_3)
	v_fmac_f32_e32 v58, v98, v2
	v_mul_f32_e32 v2, v99, v2
	v_fmac_f32_e32 v68, v54, v0
	v_mul_f32_e32 v0, v55, v0
	s_delay_alu instid0(VALU_DEP_3) | instskip(NEXT) | instid1(VALU_DEP_3)
	v_fma_f32 v59, v98, v3, -v2
	v_sub_f32_e32 v84, v68, v16
	s_delay_alu instid0(VALU_DEP_3) | instskip(SKIP_4) | instid1(VALU_DEP_1)
	v_fma_f32 v54, v54, v1, -v0
	ds_load_2addr_b64 v[0:3], v251 offset0:72 offset1:172
	v_sub_f32_e32 v81, v54, v17
	s_waitcnt lgkmcnt(0)
	v_mul_f32_e32 v55, v53, v3
	v_fmac_f32_e32 v55, v52, v2
	v_mul_f32_e32 v2, v53, v2
	s_delay_alu instid0(VALU_DEP_2) | instskip(NEXT) | instid1(VALU_DEP_2)
	v_add_f32_e32 v8, v55, v66
	v_fma_f32 v52, v52, v3, -v2
	ds_load_2addr_b64 v[2:5], v247 offset1:100
	v_add_f32_e32 v8, v8, v22
	v_add_f32_e32 v9, v52, v67
	s_delay_alu instid0(VALU_DEP_1) | instskip(NEXT) | instid1(VALU_DEP_1)
	v_dual_add_f32 v8, v8, v18 :: v_dual_add_f32 v9, v9, v23
	v_dual_add_f32 v8, v8, v14 :: v_dual_add_f32 v9, v9, v19
	s_waitcnt lgkmcnt(0)
	s_delay_alu instid0(VALU_DEP_1) | instskip(NEXT) | instid1(VALU_DEP_1)
	v_dual_add_f32 v9, v9, v15 :: v_dual_add_f32 v6, v2, v68
	v_dual_add_f32 v7, v3, v54 :: v_dual_add_f32 v6, v6, v64
	s_delay_alu instid0(VALU_DEP_1) | instskip(NEXT) | instid1(VALU_DEP_1)
	v_dual_add_f32 v7, v7, v65 :: v_dual_add_f32 v6, v6, v20
	v_dual_add_f32 v7, v7, v21 :: v_dual_add_f32 v10, v6, v16
	s_delay_alu instid0(VALU_DEP_1) | instskip(NEXT) | instid1(VALU_DEP_1)
	v_dual_add_f32 v11, v7, v17 :: v_dual_add_f32 v6, v10, v8
	v_dual_add_f32 v7, v11, v9 :: v_dual_sub_f32 v8, v10, v8
	v_dual_sub_f32 v9, v11, v9 :: v_dual_sub_f32 v10, v68, v64
	v_sub_f32_e32 v11, v16, v20
	s_delay_alu instid0(VALU_DEP_1) | instskip(SKIP_2) | instid1(VALU_DEP_1)
	v_add_f32_e32 v53, v10, v11
	v_sub_f32_e32 v10, v54, v65
	v_sub_f32_e32 v11, v17, v21
	v_add_f32_e32 v69, v10, v11
	v_sub_f32_e32 v10, v66, v22
	v_sub_f32_e32 v11, v14, v18
	s_delay_alu instid0(VALU_DEP_1) | instskip(SKIP_2) | instid1(VALU_DEP_1)
	v_add_f32_e32 v70, v10, v11
	v_sub_f32_e32 v10, v67, v23
	v_sub_f32_e32 v11, v15, v19
	v_add_f32_e32 v71, v10, v11
	v_add_f32_e32 v10, v22, v18
	s_delay_alu instid0(VALU_DEP_1) | instskip(NEXT) | instid1(VALU_DEP_1)
	v_fma_f32 v72, -0.5, v10, v55
	v_dual_add_f32 v10, v23, v19 :: v_dual_fmamk_f32 v11, v76, 0xbf737871, v72
	s_delay_alu instid0(VALU_DEP_1) | instskip(SKIP_1) | instid1(VALU_DEP_3)
	v_fma_f32 v73, -0.5, v10, v52
	v_fmac_f32_e32 v72, 0x3f737871, v76
	v_fmac_f32_e32 v11, 0xbf167918, v77
	s_delay_alu instid0(VALU_DEP_3) | instskip(SKIP_1) | instid1(VALU_DEP_4)
	v_fmamk_f32 v10, v74, 0x3f737871, v73
	v_fmac_f32_e32 v73, 0xbf737871, v74
	v_fmac_f32_e32 v72, 0x3f167918, v77
	s_delay_alu instid0(VALU_DEP_4) | instskip(NEXT) | instid1(VALU_DEP_4)
	v_fmac_f32_e32 v11, 0x3e9e377a, v70
	v_fmac_f32_e32 v10, 0x3f167918, v75
	s_delay_alu instid0(VALU_DEP_4) | instskip(NEXT) | instid1(VALU_DEP_4)
	v_fmac_f32_e32 v73, 0xbf167918, v75
	v_fmac_f32_e32 v72, 0x3e9e377a, v70
	s_delay_alu instid0(VALU_DEP_3) | instskip(NEXT) | instid1(VALU_DEP_3)
	v_fmac_f32_e32 v10, 0x3e9e377a, v71
	v_fmac_f32_e32 v73, 0x3e9e377a, v71
	s_delay_alu instid0(VALU_DEP_2) | instskip(SKIP_3) | instid1(VALU_DEP_4)
	v_mul_f32_e32 v78, 0xbf167918, v10
	v_dual_mul_f32 v79, 0x3f4f1bbd, v10 :: v_dual_add_f32 v10, v64, v20
	v_sub_f32_e32 v64, v64, v68
	v_sub_f32_e32 v20, v20, v16
	v_fmac_f32_e32 v78, 0x3f4f1bbd, v11
	s_delay_alu instid0(VALU_DEP_4) | instskip(SKIP_1) | instid1(VALU_DEP_4)
	v_fmac_f32_e32 v79, 0x3f167918, v11
	v_dual_add_f32 v11, v65, v21 :: v_dual_add_f32 v16, v68, v16
	v_add_f32_e32 v20, v64, v20
	v_sub_f32_e32 v64, v65, v54
	v_add_f32_e32 v54, v54, v17
	v_sub_f32_e32 v17, v21, v17
	v_sub_f32_e32 v21, v22, v66
	v_add_f32_e32 v22, v66, v14
	v_sub_f32_e32 v14, v18, v14
	;; [unrolled: 3-line block ×3, first 2 shown]
	v_fmac_f32_e32 v55, -0.5, v22
	v_add_f32_e32 v19, v21, v14
	v_fma_f32 v16, -0.5, v16, v2
	v_fmac_f32_e32 v52, -0.5, v23
	v_fma_f32 v23, -0.5, v54, v3
	v_fma_f32 v80, -0.5, v10, v2
	;; [unrolled: 1-line block ×3, first 2 shown]
	v_add_f32_e32 v18, v18, v15
	v_fmamk_f32 v14, v75, 0xbf737871, v52
	v_dual_fmac_f32 v52, 0x3f737871, v75 :: v_dual_fmamk_f32 v15, v77, 0x3f737871, v55
	v_fmamk_f32 v2, v82, 0x3f737871, v16
	v_dual_fmamk_f32 v3, v85, 0xbf737871, v23 :: v_dual_fmac_f32 v16, 0xbf737871, v82
	v_fmac_f32_e32 v23, 0x3f737871, v85
	s_delay_alu instid0(VALU_DEP_4)
	v_fmac_f32_e32 v52, 0xbf167918, v74
	v_fmac_f32_e32 v55, 0xbf737871, v77
	v_dual_fmac_f32 v14, 0x3f167918, v74 :: v_dual_add_f32 v17, v64, v17
	v_fmac_f32_e32 v2, 0xbf167918, v81
	v_dual_fmac_f32 v3, 0x3f167918, v84 :: v_dual_fmac_f32 v16, 0x3f167918, v81
	v_fmac_f32_e32 v23, 0xbf167918, v84
	v_fmac_f32_e32 v52, 0x3e9e377a, v18
	;; [unrolled: 1-line block ×5, first 2 shown]
	v_fmamk_f32 v11, v84, 0x3f737871, v83
	v_dual_fmac_f32 v2, 0x3e9e377a, v20 :: v_dual_fmac_f32 v3, 0x3e9e377a, v17
	v_dual_fmac_f32 v16, 0x3e9e377a, v20 :: v_dual_fmac_f32 v23, 0x3e9e377a, v17
	v_fmac_f32_e32 v55, 0x3e9e377a, v19
	v_mul_f32_e32 v17, 0xbf737871, v52
	v_mul_f32_e32 v20, 0xbe9e377a, v52
	v_fmac_f32_e32 v15, 0x3e9e377a, v19
	v_mul_f32_e32 v21, 0xbf737871, v14
	v_fmac_f32_e32 v11, 0x3f167918, v85
	v_fmac_f32_e32 v17, 0xbe9e377a, v55
	v_dual_fmac_f32 v20, 0x3f737871, v55 :: v_dual_add_f32 v55, v1, v49
	v_fmamk_f32 v10, v81, 0xbf737871, v80
	v_fmac_f32_e32 v21, 0x3e9e377a, v15
	v_fmac_f32_e32 v80, 0x3f737871, v81
	;; [unrolled: 1-line block ×5, first 2 shown]
	v_mul_f32_e32 v22, 0x3e9e377a, v14
	v_add_f32_e32 v14, v2, v21
	v_sub_f32_e32 v2, v2, v21
	v_dual_add_f32 v18, v16, v17 :: v_dual_add_f32 v19, v23, v20
	v_dual_sub_f32 v16, v16, v17 :: v_dual_sub_f32 v17, v23, v20
	v_fmac_f32_e32 v80, 0x3f167918, v82
	v_fmac_f32_e32 v83, 0xbf167918, v85
	v_mul_f32_e32 v20, 0xbf167918, v73
	v_mul_f32_e32 v21, 0xbf4f1bbd, v73
	v_add_f32_e32 v13, v11, v79
	v_sub_f32_e32 v11, v11, v79
	v_dual_sub_f32 v79, v59, v42 :: v_dual_fmac_f32 v10, 0x3e9e377a, v53
	v_fmac_f32_e32 v22, 0x3f737871, v15
	v_fmac_f32_e32 v80, 0x3e9e377a, v53
	;; [unrolled: 1-line block ×4, first 2 shown]
	v_dual_fmac_f32 v21, 0x3f167918, v72 :: v_dual_add_f32 v12, v10, v78
	v_add_f32_e32 v15, v3, v22
	s_delay_alu instid0(VALU_DEP_3) | instskip(NEXT) | instid1(VALU_DEP_3)
	v_dual_sub_f32 v3, v3, v22 :: v_dual_add_f32 v22, v80, v20
	v_dual_add_f32 v23, v83, v21 :: v_dual_sub_f32 v10, v10, v78
	v_dual_sub_f32 v20, v80, v20 :: v_dual_sub_f32 v21, v83, v21
	ds_store_b64 v247, v[12:13] offset:2400
	ds_store_b64 v247, v[14:15] offset:4800
	;; [unrolled: 1-line block ×9, first 2 shown]
	v_dual_add_f32 v2, v4, v58 :: v_dual_add_f32 v3, v5, v59
	v_dual_add_f32 v8, v62, v51 :: v_dual_add_f32 v9, v63, v56
	v_sub_f32_e32 v81, v50, v45
	s_delay_alu instid0(VALU_DEP_3) | instskip(NEXT) | instid1(VALU_DEP_3)
	v_dual_add_f32 v2, v2, v50 :: v_dual_add_f32 v3, v3, v57
	v_dual_add_f32 v8, v8, v46 :: v_dual_add_f32 v9, v9, v47
	v_sub_f32_e32 v20, v51, v28
	s_delay_alu instid0(VALU_DEP_3) | instskip(NEXT) | instid1(VALU_DEP_3)
	v_dual_add_f32 v2, v2, v45 :: v_dual_add_f32 v3, v3, v48
	v_dual_add_f32 v8, v8, v38 :: v_dual_add_f32 v9, v9, v39
	s_delay_alu instid0(VALU_DEP_2) | instskip(NEXT) | instid1(VALU_DEP_2)
	v_dual_sub_f32 v21, v47, v39 :: v_dual_add_f32 v10, v2, v40
	v_dual_add_f32 v11, v3, v42 :: v_dual_add_f32 v8, v8, v28
	s_delay_alu instid0(VALU_DEP_3) | instskip(SKIP_2) | instid1(VALU_DEP_3)
	v_add_f32_e32 v9, v9, v31
	v_sub_f32_e32 v22, v56, v31
	v_dual_add_f32 v66, v60, v43 :: v_dual_add_f32 v69, v61, v44
	v_dual_add_f32 v2, v10, v8 :: v_dual_add_f32 v3, v11, v9
	v_dual_sub_f32 v73, v35, v30 :: v_dual_sub_f32 v74, v44, v25
	v_sub_f32_e32 v82, v58, v40
	v_sub_f32_e32 v78, v57, v48
	ds_store_2addr_b64 v247, v[6:7], v[2:3] offset1:100
	v_dual_sub_f32 v2, v50, v58 :: v_dual_sub_f32 v3, v45, v40
	v_sub_f32_e32 v85, v37, v33
	s_delay_alu instid0(VALU_DEP_2) | instskip(SKIP_1) | instid1(VALU_DEP_1)
	v_dual_sub_f32 v89, v41, v26 :: v_dual_add_f32 v12, v2, v3
	v_dual_add_f32 v2, v57, v48 :: v_dual_sub_f32 v3, v48, v42
	v_fma_f32 v13, -0.5, v2, v5
	v_add_f32_e32 v2, v59, v42
	s_delay_alu instid0(VALU_DEP_1) | instskip(NEXT) | instid1(VALU_DEP_1)
	v_dual_fmac_f32 v5, -0.5, v2 :: v_dual_sub_f32 v2, v57, v59
	v_dual_fmamk_f32 v83, v81, 0xbf737871, v5 :: v_dual_add_f32 v14, v2, v3
	v_add_f32_e32 v2, v46, v38
	v_sub_f32_e32 v3, v38, v28
	v_sub_f32_e32 v19, v46, v38
	v_fmac_f32_e32 v5, 0x3f737871, v81
	v_fmac_f32_e32 v83, 0x3f167918, v82
	v_fma_f32 v15, -0.5, v2, v62
	v_add_f32_e32 v2, v51, v28
	s_delay_alu instid0(VALU_DEP_4) | instskip(NEXT) | instid1(VALU_DEP_4)
	v_dual_sub_f32 v88, v36, v32 :: v_dual_fmac_f32 v5, 0xbf167918, v82
	v_fmac_f32_e32 v83, 0x3e9e377a, v14
	s_delay_alu instid0(VALU_DEP_3) | instskip(NEXT) | instid1(VALU_DEP_3)
	v_fmac_f32_e32 v62, -0.5, v2
	v_dual_sub_f32 v2, v46, v51 :: v_dual_fmac_f32 v5, 0x3e9e377a, v14
	s_delay_alu instid0(VALU_DEP_1) | instskip(SKIP_2) | instid1(VALU_DEP_2)
	v_add_f32_e32 v16, v2, v3
	v_add_f32_e32 v2, v47, v39
	v_sub_f32_e32 v3, v39, v31
	v_fma_f32 v17, -0.5, v2, v63
	v_add_f32_e32 v2, v56, v31
	v_sub_f32_e32 v31, v31, v39
	s_delay_alu instid0(VALU_DEP_2) | instskip(NEXT) | instid1(VALU_DEP_1)
	v_dual_fmac_f32 v63, -0.5, v2 :: v_dual_sub_f32 v2, v47, v56
	v_add_f32_e32 v18, v2, v3
	s_delay_alu instid0(VALU_DEP_2) | instskip(SKIP_3) | instid1(VALU_DEP_4)
	v_fmamk_f32 v2, v19, 0xbf737871, v63
	v_fmamk_f32 v3, v21, 0x3f737871, v62
	v_fmac_f32_e32 v63, 0x3f737871, v19
	v_dual_sub_f32 v71, v34, v29 :: v_dual_sub_f32 v72, v43, v24
	v_fmac_f32_e32 v2, 0x3f167918, v20
	s_delay_alu instid0(VALU_DEP_4) | instskip(NEXT) | instid1(VALU_DEP_4)
	v_fmac_f32_e32 v3, 0xbf167918, v22
	v_fmac_f32_e32 v63, 0xbf167918, v20
	;; [unrolled: 1-line block ×3, first 2 shown]
	s_delay_alu instid0(VALU_DEP_3) | instskip(NEXT) | instid1(VALU_DEP_3)
	v_dual_fmac_f32 v2, 0x3e9e377a, v18 :: v_dual_fmac_f32 v3, 0x3e9e377a, v16
	v_fmac_f32_e32 v63, 0x3e9e377a, v18
	s_delay_alu instid0(VALU_DEP_3) | instskip(NEXT) | instid1(VALU_DEP_3)
	v_fmac_f32_e32 v62, 0x3f167918, v22
	v_mul_f32_e32 v23, 0xbf737871, v2
	v_mul_f32_e32 v52, 0x3e9e377a, v2
	v_sub_f32_e32 v2, v36, v41
	s_delay_alu instid0(VALU_DEP_4) | instskip(SKIP_3) | instid1(VALU_DEP_1)
	v_fmac_f32_e32 v62, 0x3e9e377a, v16
	v_mul_f32_e32 v14, 0xbe9e377a, v63
	v_fmac_f32_e32 v23, 0x3e9e377a, v3
	v_dual_fmac_f32 v52, 0x3f737871, v3 :: v_dual_sub_f32 v3, v32, v26
	v_dual_fmac_f32 v14, 0x3f737871, v62 :: v_dual_add_f32 v53, v2, v3
	v_add_f32_e32 v2, v37, v33
	v_sub_f32_e32 v3, v33, v27
	s_delay_alu instid0(VALU_DEP_2) | instskip(SKIP_1) | instid1(VALU_DEP_1)
	v_fma_f32 v54, -0.5, v2, v1
	v_add_f32_e32 v2, v49, v27
	v_dual_fmac_f32 v1, -0.5, v2 :: v_dual_sub_f32 v2, v37, v49
	s_delay_alu instid0(VALU_DEP_1) | instskip(NEXT) | instid1(VALU_DEP_2)
	v_fmamk_f32 v90, v88, 0xbf737871, v1
	v_add_f32_e32 v64, v2, v3
	v_dual_add_f32 v2, v34, v29 :: v_dual_sub_f32 v3, v29, v24
	v_fmac_f32_e32 v1, 0x3f737871, v88
	s_delay_alu instid0(VALU_DEP_4) | instskip(NEXT) | instid1(VALU_DEP_3)
	v_fmac_f32_e32 v90, 0x3f167918, v89
	v_fma_f32 v65, -0.5, v2, v60
	s_delay_alu instid0(VALU_DEP_3) | instskip(NEXT) | instid1(VALU_DEP_3)
	v_dual_add_f32 v2, v43, v24 :: v_dual_fmac_f32 v1, 0xbf167918, v89
	v_fmac_f32_e32 v90, 0x3e9e377a, v64
	s_delay_alu instid0(VALU_DEP_2) | instskip(NEXT) | instid1(VALU_DEP_3)
	v_fmac_f32_e32 v60, -0.5, v2
	v_dual_sub_f32 v2, v34, v43 :: v_dual_fmac_f32 v1, 0x3e9e377a, v64
	s_delay_alu instid0(VALU_DEP_1) | instskip(SKIP_1) | instid1(VALU_DEP_2)
	v_dual_add_f32 v67, v2, v3 :: v_dual_add_f32 v2, v35, v30
	v_sub_f32_e32 v3, v30, v25
	v_fma_f32 v68, -0.5, v2, v61
	v_add_f32_e32 v2, v44, v25
	s_delay_alu instid0(VALU_DEP_1) | instskip(NEXT) | instid1(VALU_DEP_1)
	v_dual_fmac_f32 v61, -0.5, v2 :: v_dual_sub_f32 v2, v35, v44
	v_add_f32_e32 v70, v2, v3
	s_delay_alu instid0(VALU_DEP_2) | instskip(SKIP_3) | instid1(VALU_DEP_4)
	v_fmamk_f32 v2, v71, 0xbf737871, v61
	v_fmamk_f32 v3, v73, 0x3f737871, v60
	v_fmac_f32_e32 v61, 0x3f737871, v71
	v_fmac_f32_e32 v60, 0xbf737871, v73
	;; [unrolled: 1-line block ×3, first 2 shown]
	s_delay_alu instid0(VALU_DEP_4) | instskip(NEXT) | instid1(VALU_DEP_4)
	v_fmac_f32_e32 v3, 0xbf167918, v74
	v_fmac_f32_e32 v61, 0xbf167918, v72
	s_delay_alu instid0(VALU_DEP_4) | instskip(NEXT) | instid1(VALU_DEP_3)
	v_fmac_f32_e32 v60, 0x3f167918, v74
	v_dual_fmac_f32 v2, 0x3e9e377a, v70 :: v_dual_fmac_f32 v3, 0x3e9e377a, v67
	s_delay_alu instid0(VALU_DEP_2) | instskip(NEXT) | instid1(VALU_DEP_2)
	v_dual_fmac_f32 v61, 0x3e9e377a, v70 :: v_dual_fmac_f32 v60, 0x3e9e377a, v67
	v_mul_f32_e32 v75, 0xbf737871, v2
	v_mul_f32_e32 v76, 0x3e9e377a, v2
	s_delay_alu instid0(VALU_DEP_3) | instskip(SKIP_1) | instid1(VALU_DEP_4)
	v_mul_f32_e32 v16, 0xbf737871, v61
	v_mul_f32_e32 v18, 0xbe9e377a, v61
	v_fmac_f32_e32 v75, 0x3e9e377a, v3
	s_delay_alu instid0(VALU_DEP_4) | instskip(SKIP_3) | instid1(VALU_DEP_4)
	v_dual_fmac_f32 v76, 0x3f737871, v3 :: v_dual_add_f32 v3, v83, v52
	v_add_f32_e32 v2, v58, v40
	v_fmac_f32_e32 v16, 0xbe9e377a, v60
	v_fmac_f32_e32 v18, 0x3f737871, v60
	v_add_f32_e32 v7, v90, v76
	v_sub_f32_e32 v39, v40, v45
	v_fma_f32 v77, -0.5, v2, v4
	v_add_f32_e32 v2, v41, v26
	s_delay_alu instid0(VALU_DEP_2) | instskip(NEXT) | instid1(VALU_DEP_2)
	v_fmamk_f32 v80, v78, 0x3f737871, v77
	v_fma_f32 v84, -0.5, v2, v0
	v_fmac_f32_e32 v77, 0xbf737871, v78
	s_delay_alu instid0(VALU_DEP_3) | instskip(NEXT) | instid1(VALU_DEP_3)
	v_fmac_f32_e32 v80, 0xbf167918, v79
	v_fmamk_f32 v87, v85, 0x3f737871, v84
	s_delay_alu instid0(VALU_DEP_3) | instskip(SKIP_1) | instid1(VALU_DEP_4)
	v_fmac_f32_e32 v77, 0x3f167918, v79
	v_fmac_f32_e32 v84, 0xbf737871, v85
	;; [unrolled: 1-line block ×3, first 2 shown]
	s_delay_alu instid0(VALU_DEP_4) | instskip(NEXT) | instid1(VALU_DEP_4)
	v_fmac_f32_e32 v87, 0xbf167918, v86
	v_fmac_f32_e32 v77, 0x3e9e377a, v12
	v_mul_f32_e32 v12, 0xbf737871, v63
	v_fmac_f32_e32 v84, 0x3f167918, v86
	s_delay_alu instid0(VALU_DEP_4) | instskip(NEXT) | instid1(VALU_DEP_3)
	v_dual_add_f32 v2, v80, v23 :: v_dual_fmac_f32 v87, 0x3e9e377a, v53
	v_fmac_f32_e32 v12, 0xbe9e377a, v62
	s_delay_alu instid0(VALU_DEP_3) | instskip(SKIP_1) | instid1(VALU_DEP_4)
	v_fmac_f32_e32 v84, 0x3e9e377a, v53
	v_add_nc_u32_e32 v53, 0x4c00, v247
	v_add_f32_e32 v6, v87, v75
	ds_store_2addr_b64 v91, v[2:3], v[6:7] offset0:60 offset1:160
	v_sub_f32_e32 v2, v77, v12
	v_dual_sub_f32 v3, v5, v14 :: v_dual_sub_f32 v6, v84, v16
	v_sub_f32_e32 v7, v1, v18
	ds_store_2addr_b64 v53, v[2:3], v[6:7] offset0:68 offset1:168
	v_dual_sub_f32 v2, v59, v57 :: v_dual_sub_f32 v3, v42, v48
	v_sub_f32_e32 v7, v28, v38
	v_sub_f32_e32 v38, v58, v50
	;; [unrolled: 1-line block ×3, first 2 shown]
	v_dual_sub_f32 v6, v51, v46 :: v_dual_fmamk_f32 v53, v82, 0x3f737871, v13
	s_delay_alu instid0(VALU_DEP_3) | instskip(SKIP_1) | instid1(VALU_DEP_4)
	v_dual_fmamk_f32 v57, v89, 0x3f737871, v54 :: v_dual_add_f32 v38, v38, v39
	v_dual_add_f32 v39, v2, v3 :: v_dual_fmamk_f32 v2, v20, 0x3f737871, v17
	v_dual_add_f32 v28, v28, v31 :: v_dual_fmamk_f32 v3, v22, 0xbf737871, v15
	s_delay_alu instid0(VALU_DEP_4) | instskip(NEXT) | instid1(VALU_DEP_3)
	v_dual_add_f32 v42, v6, v7 :: v_dual_fmac_f32 v53, 0x3f167918, v81
	v_dual_fmac_f32 v2, 0x3f167918, v19 :: v_dual_fmac_f32 v57, 0x3f167918, v88
	s_delay_alu instid0(VALU_DEP_3) | instskip(NEXT) | instid1(VALU_DEP_3)
	v_fmac_f32_e32 v3, 0xbf167918, v21
	v_dual_add_f32 v40, v50, v45 :: v_dual_fmac_f32 v53, 0x3e9e377a, v39
	s_delay_alu instid0(VALU_DEP_3) | instskip(SKIP_1) | instid1(VALU_DEP_4)
	v_fmac_f32_e32 v2, 0x3e9e377a, v28
	v_fmac_f32_e32 v17, 0xbf737871, v20
	;; [unrolled: 1-line block ×3, first 2 shown]
	s_delay_alu instid0(VALU_DEP_4) | instskip(SKIP_3) | instid1(VALU_DEP_4)
	v_fma_f32 v40, -0.5, v40, v4
	v_fmac_f32_e32 v15, 0x3f737871, v22
	v_mul_f32_e32 v31, 0xbf167918, v2
	v_dual_mul_f32 v45, 0x3f4f1bbd, v2 :: v_dual_sub_f32 v2, v41, v36
	v_fmamk_f32 v50, v79, 0xbf737871, v40
	v_fmac_f32_e32 v17, 0xbf167918, v19
	s_delay_alu instid0(VALU_DEP_4) | instskip(NEXT) | instid1(VALU_DEP_4)
	v_fmac_f32_e32 v31, 0x3f4f1bbd, v3
	v_fmac_f32_e32 v45, 0x3f167918, v3
	s_delay_alu instid0(VALU_DEP_4) | instskip(SKIP_2) | instid1(VALU_DEP_3)
	v_dual_sub_f32 v3, v26, v32 :: v_dual_fmac_f32 v50, 0xbf167918, v78
	v_add_f32_e32 v4, v1, v18
	v_dual_add_f32 v1, v77, v12 :: v_dual_fmac_f32 v40, 0x3f737871, v79
	v_add_f32_e32 v46, v2, v3
	v_sub_f32_e32 v2, v49, v37
	v_dual_sub_f32 v3, v27, v33 :: v_dual_fmac_f32 v50, 0x3e9e377a, v38
	v_fmac_f32_e32 v13, 0xbf737871, v82
	v_fmac_f32_e32 v15, 0x3f167918, v21
	s_delay_alu instid0(VALU_DEP_3) | instskip(SKIP_3) | instid1(VALU_DEP_4)
	v_dual_fmac_f32 v54, 0xbf737871, v89 :: v_dual_add_f32 v47, v2, v3
	v_dual_sub_f32 v2, v43, v34 :: v_dual_sub_f32 v3, v24, v29
	v_fmac_f32_e32 v17, 0x3e9e377a, v28
	v_fmac_f32_e32 v40, 0x3f167918, v78
	;; [unrolled: 1-line block ×4, first 2 shown]
	v_add_f32_e32 v43, v2, v3
	v_dual_sub_f32 v2, v44, v35 :: v_dual_sub_f32 v3, v25, v30
	v_fmac_f32_e32 v15, 0x3e9e377a, v42
	v_fmac_f32_e32 v54, 0xbf167918, v88
	v_dual_fmac_f32 v40, 0x3e9e377a, v38 :: v_dual_fmac_f32 v13, 0x3e9e377a, v39
	s_delay_alu instid0(VALU_DEP_4) | instskip(SKIP_4) | instid1(VALU_DEP_4)
	v_add_f32_e32 v44, v2, v3
	v_fmamk_f32 v2, v72, 0x3f737871, v68
	v_dual_fmamk_f32 v3, v74, 0xbf737871, v65 :: v_dual_fmac_f32 v68, 0xbf737871, v72
	v_fmac_f32_e32 v65, 0x3f737871, v74
	v_fmac_f32_e32 v54, 0x3e9e377a, v47
	;; [unrolled: 1-line block ×3, first 2 shown]
	s_delay_alu instid0(VALU_DEP_4) | instskip(NEXT) | instid1(VALU_DEP_4)
	v_dual_fmac_f32 v3, 0xbf167918, v73 :: v_dual_fmac_f32 v68, 0xbf167918, v71
	v_fmac_f32_e32 v65, 0x3f167918, v73
	s_delay_alu instid0(VALU_DEP_2) | instskip(NEXT) | instid1(VALU_DEP_2)
	v_dual_fmac_f32 v2, 0x3e9e377a, v44 :: v_dual_fmac_f32 v3, 0x3e9e377a, v43
	v_dual_fmac_f32 v68, 0x3e9e377a, v44 :: v_dual_fmac_f32 v65, 0x3e9e377a, v43
	s_delay_alu instid0(VALU_DEP_2) | instskip(SKIP_1) | instid1(VALU_DEP_3)
	v_mul_f32_e32 v48, 0xbf167918, v2
	v_dual_mul_f32 v49, 0x3f4f1bbd, v2 :: v_dual_add_f32 v2, v36, v32
	v_mul_f32_e32 v12, 0xbf4f1bbd, v68
	s_delay_alu instid0(VALU_DEP_3) | instskip(NEXT) | instid1(VALU_DEP_3)
	v_fmac_f32_e32 v48, 0x3f4f1bbd, v3
	v_fmac_f32_e32 v49, 0x3f167918, v3
	s_delay_alu instid0(VALU_DEP_4) | instskip(SKIP_2) | instid1(VALU_DEP_3)
	v_fma_f32 v51, -0.5, v2, v0
	v_dual_add_f32 v2, v50, v31 :: v_dual_add_f32 v3, v53, v45
	v_fmac_f32_e32 v12, 0x3f167918, v65
	v_dual_add_f32 v7, v57, v49 :: v_dual_fmamk_f32 v56, v86, 0xbf737871, v51
	v_fmac_f32_e32 v51, 0x3f737871, v86
	s_delay_alu instid0(VALU_DEP_2) | instskip(NEXT) | instid1(VALU_DEP_2)
	v_fmac_f32_e32 v56, 0xbf167918, v85
	v_fmac_f32_e32 v51, 0x3f167918, v85
	s_delay_alu instid0(VALU_DEP_2) | instskip(NEXT) | instid1(VALU_DEP_1)
	v_fmac_f32_e32 v56, 0x3e9e377a, v46
	v_dual_fmac_f32 v51, 0x3e9e377a, v46 :: v_dual_add_f32 v6, v56, v48
	ds_store_2addr_b64 v191, v[2:3], v[6:7] offset0:144 offset1:244
	v_dual_add_f32 v2, v5, v14 :: v_dual_add_f32 v3, v84, v16
	v_mul_f32_e32 v6, 0xbf4f1bbd, v17
	v_mul_f32_e32 v7, 0xbf167918, v68
	v_add_f32_e32 v5, v0, v41
	ds_store_2addr_b64 v155, v[1:2], v[3:4] offset0:104 offset1:204
	v_mul_f32_e32 v4, 0xbf167918, v17
	v_fmac_f32_e32 v6, 0x3f167918, v15
	v_fmac_f32_e32 v7, 0xbf4f1bbd, v65
	s_delay_alu instid0(VALU_DEP_3) | instskip(NEXT) | instid1(VALU_DEP_2)
	v_dual_add_f32 v3, v54, v12 :: v_dual_fmac_f32 v4, 0xbf4f1bbd, v15
	v_dual_add_f32 v1, v13, v6 :: v_dual_add_f32 v2, v51, v7
	s_delay_alu instid0(VALU_DEP_2) | instskip(SKIP_4) | instid1(VALU_DEP_2)
	v_add_f32_e32 v0, v40, v4
	ds_store_2addr_b64 v250, v[0:1], v[2:3] offset0:20 offset1:120
	v_sub_f32_e32 v0, v10, v8
	v_dual_add_f32 v2, v5, v36 :: v_dual_add_f32 v3, v55, v37
	v_dual_add_f32 v5, v66, v34 :: v_dual_add_f32 v8, v69, v35
	v_dual_sub_f32 v1, v11, v9 :: v_dual_add_f32 v2, v2, v32
	s_delay_alu instid0(VALU_DEP_3) | instskip(NEXT) | instid1(VALU_DEP_3)
	v_add_f32_e32 v3, v3, v33
	v_dual_add_f32 v5, v5, v29 :: v_dual_add_f32 v8, v8, v30
	s_delay_alu instid0(VALU_DEP_2) | instskip(NEXT) | instid1(VALU_DEP_2)
	v_dual_add_f32 v9, v2, v26 :: v_dual_add_f32 v10, v3, v27
	v_dual_add_f32 v5, v5, v24 :: v_dual_add_f32 v8, v8, v25
	s_delay_alu instid0(VALU_DEP_1)
	v_dual_sub_f32 v2, v9, v5 :: v_dual_sub_f32 v3, v10, v8
	ds_store_2addr_b64 v161, v[0:1], v[2:3] offset0:64 offset1:164
	v_dual_sub_f32 v0, v50, v31 :: v_dual_sub_f32 v1, v53, v45
	v_dual_sub_f32 v2, v56, v48 :: v_dual_sub_f32 v3, v57, v49
	ds_store_2addr_b64 v217, v[0:1], v[2:3] offset0:108 offset1:208
	v_dual_sub_f32 v0, v80, v23 :: v_dual_sub_f32 v1, v83, v52
	;; [unrolled: 3-line block ×3, first 2 shown]
	v_dual_sub_f32 v2, v51, v7 :: v_dual_sub_f32 v3, v54, v12
	ds_store_2addr_b64 v189, v[0:1], v[2:3] offset0:112 offset1:212
	v_dual_add_f32 v0, v9, v5 :: v_dual_add_f32 v1, v10, v8
	ds_store_b64 v247, v[0:1] offset:1600
	s_waitcnt lgkmcnt(0)
	s_barrier
	buffer_gl0_inv
	scratch_load_b64 v[5:6], off, off offset:224 ; 8-byte Folded Reload
	ds_load_2addr_b64 v[1:4], v247 offset1:100
	scratch_load_b64 v[9:10], off, off offset:184 ; 8-byte Folded Reload
	ds_load_2addr_b64 v[13:16], v246 offset0:48 offset1:148
	s_clause 0x2
	scratch_load_b64 v[18:19], off, off offset:160
	scratch_load_b64 v[21:22], off, off offset:136
	scratch_load_b32 v66, off, off offset:232
	s_waitcnt vmcnt(4) lgkmcnt(1)
	v_mul_f32_e32 v0, v6, v2
	s_delay_alu instid0(VALU_DEP_1) | instskip(SKIP_1) | instid1(VALU_DEP_1)
	v_fmac_f32_e32 v0, v5, v1
	v_mul_f32_e32 v1, v6, v1
	v_fma_f32 v1, v5, v2, -v1
	scratch_load_b64 v[5:6], off, off offset:208 ; 8-byte Folded Reload
	s_waitcnt vmcnt(0)
	v_mul_f32_e32 v2, v6, v4
	s_delay_alu instid0(VALU_DEP_1) | instskip(SKIP_1) | instid1(VALU_DEP_1)
	v_fmac_f32_e32 v2, v5, v3
	v_mul_f32_e32 v3, v6, v3
	v_fma_f32 v3, v5, v4, -v3
	ds_load_2addr_b64 v[4:7], v195 offset0:88 offset1:188
	s_waitcnt lgkmcnt(0)
	v_mul_f32_e32 v8, v10, v5
	s_delay_alu instid0(VALU_DEP_1)
	v_fmac_f32_e32 v8, v9, v4
	v_mul_f32_e32 v4, v10, v4
	scratch_load_b64 v[10:11], off, off offset:216 ; 8-byte Folded Reload
	v_fma_f32 v9, v9, v5, -v4
	s_waitcnt vmcnt(0)
	v_mul_f32_e32 v4, v11, v7
	v_mul_f32_e32 v5, v11, v6
	s_delay_alu instid0(VALU_DEP_2) | instskip(NEXT) | instid1(VALU_DEP_2)
	v_fmac_f32_e32 v4, v10, v6
	v_fma_f32 v5, v10, v7, -v5
	scratch_load_b64 v[10:11], off, off offset:176 ; 8-byte Folded Reload
	s_waitcnt vmcnt(0)
	v_mul_f32_e32 v12, v11, v14
	v_mul_f32_e32 v6, v11, v13
	s_delay_alu instid0(VALU_DEP_2) | instskip(NEXT) | instid1(VALU_DEP_2)
	v_fmac_f32_e32 v12, v10, v13
	v_fma_f32 v13, v10, v14, -v6
	scratch_load_b64 v[10:11], off, off offset:200 ; 8-byte Folded Reload
	s_waitcnt vmcnt(0)
	v_mul_f32_e32 v6, v11, v16
	v_mul_f32_e32 v7, v11, v15
	s_delay_alu instid0(VALU_DEP_2) | instskip(NEXT) | instid1(VALU_DEP_2)
	v_fmac_f32_e32 v6, v10, v15
	v_fma_f32 v10, v10, v16, -v7
	ds_load_2addr_b64 v[14:17], v217 offset0:8 offset1:108
	s_waitcnt lgkmcnt(0)
	v_mul_f32_e32 v23, v19, v15
	v_mul_f32_e32 v7, v19, v14
	s_delay_alu instid0(VALU_DEP_2) | instskip(NEXT) | instid1(VALU_DEP_2)
	v_fmac_f32_e32 v23, v18, v14
	v_fma_f32 v24, v18, v15, -v7
	s_clause 0x1
	scratch_load_b64 v[14:15], off, off offset:192
	scratch_load_b64 v[18:19], off, off offset:236
	s_waitcnt vmcnt(1)
	v_mul_f32_e32 v7, v15, v17
	v_mul_f32_e32 v11, v15, v16
	s_delay_alu instid0(VALU_DEP_2) | instskip(NEXT) | instid1(VALU_DEP_2)
	v_fmac_f32_e32 v7, v14, v16
	v_fma_f32 v11, v14, v17, -v11
	ds_load_2addr_b64 v[14:17], v160 offset0:96 offset1:196
	s_waitcnt vmcnt(0) lgkmcnt(0)
	v_mul_f32_e32 v25, v19, v15
	s_delay_alu instid0(VALU_DEP_1) | instskip(SKIP_1) | instid1(VALU_DEP_1)
	v_fmac_f32_e32 v25, v18, v14
	v_mul_f32_e32 v14, v19, v14
	v_fma_f32 v26, v18, v15, -v14
	scratch_load_b64 v[18:19], off, off offset:272 ; 8-byte Folded Reload
	s_waitcnt vmcnt(0)
	v_mul_f32_e32 v15, v19, v17
	v_mul_f32_e32 v14, v19, v16
	s_delay_alu instid0(VALU_DEP_2) | instskip(NEXT) | instid1(VALU_DEP_2)
	v_fmac_f32_e32 v15, v18, v16
	v_fma_f32 v16, v18, v17, -v14
	ds_load_2addr_b64 v[17:20], v251 offset0:72 offset1:172
	s_waitcnt lgkmcnt(0)
	v_mul_f32_e32 v27, v22, v20
	v_mul_f32_e32 v14, v22, v19
	s_delay_alu instid0(VALU_DEP_2) | instskip(NEXT) | instid1(VALU_DEP_2)
	v_fmac_f32_e32 v27, v21, v19
	v_fma_f32 v28, v21, v20, -v14
	s_clause 0x1
	scratch_load_b64 v[19:20], off, off offset:168
	scratch_load_b64 v[21:22], off, off offset:128
	s_waitcnt vmcnt(1)
	v_mul_f32_e32 v14, v20, v18
	s_delay_alu instid0(VALU_DEP_1) | instskip(SKIP_1) | instid1(VALU_DEP_1)
	v_fmac_f32_e32 v14, v19, v17
	v_mul_f32_e32 v17, v20, v17
	v_fma_f32 v29, v19, v18, -v17
	ds_load_2addr_b64 v[17:20], v191 offset0:144 offset1:244
	s_waitcnt vmcnt(0) lgkmcnt(0)
	v_mul_f32_e32 v30, v22, v18
	s_delay_alu instid0(VALU_DEP_1) | instskip(SKIP_1) | instid1(VALU_DEP_1)
	v_fmac_f32_e32 v30, v21, v17
	v_mul_f32_e32 v17, v22, v17
	v_fma_f32 v31, v21, v18, -v17
	scratch_load_b64 v[21:22], off, off offset:144 ; 8-byte Folded Reload
	s_waitcnt vmcnt(0)
	v_mul_f32_e32 v32, v22, v20
	v_mul_f32_e32 v17, v22, v19
	s_delay_alu instid0(VALU_DEP_2) | instskip(NEXT) | instid1(VALU_DEP_2)
	v_fmac_f32_e32 v32, v21, v19
	v_fma_f32 v33, v21, v20, -v17
	scratch_load_b64 v[21:22], off, off offset:32 ; 8-byte Folded Reload
	ds_load_2addr_b64 v[17:20], v245 offset0:32 offset1:132
	s_waitcnt vmcnt(0) lgkmcnt(0)
	v_mul_f32_e32 v34, v22, v20
	s_delay_alu instid0(VALU_DEP_1) | instskip(SKIP_1) | instid1(VALU_DEP_1)
	v_fmac_f32_e32 v34, v21, v19
	v_mul_f32_e32 v19, v22, v19
	v_fma_f32 v35, v21, v20, -v19
	s_clause 0x1
	scratch_load_b64 v[19:20], off, off offset:152
	scratch_load_b64 v[21:22], off, off offset:96
	s_waitcnt vmcnt(1)
	v_mul_f32_e32 v36, v20, v18
	s_delay_alu instid0(VALU_DEP_1) | instskip(SKIP_1) | instid1(VALU_DEP_1)
	v_fmac_f32_e32 v36, v19, v17
	v_mul_f32_e32 v17, v20, v17
	v_fma_f32 v37, v19, v18, -v17
	ds_load_2addr_b64 v[17:20], v155 offset0:104 offset1:204
	s_waitcnt vmcnt(0) lgkmcnt(0)
	v_mul_f32_e32 v38, v22, v18
	s_delay_alu instid0(VALU_DEP_1) | instskip(SKIP_1) | instid1(VALU_DEP_1)
	v_fmac_f32_e32 v38, v21, v17
	v_mul_f32_e32 v17, v22, v17
	v_fma_f32 v39, v21, v18, -v17
	scratch_load_b64 v[21:22], off, off offset:104 ; 8-byte Folded Reload
	s_waitcnt vmcnt(0)
	v_mul_f32_e32 v40, v22, v20
	v_mul_f32_e32 v17, v22, v19
	s_delay_alu instid0(VALU_DEP_2) | instskip(NEXT) | instid1(VALU_DEP_2)
	v_fmac_f32_e32 v40, v21, v19
	v_fma_f32 v41, v21, v20, -v17
	scratch_load_b64 v[21:22], off, off offset:24 ; 8-byte Folded Reload
	ds_load_2addr_b64 v[17:20], v250 offset0:120 offset1:220
	s_waitcnt vmcnt(0) lgkmcnt(0)
	v_mul_f32_e32 v42, v22, v20
	s_delay_alu instid0(VALU_DEP_1) | instskip(SKIP_1) | instid1(VALU_DEP_1)
	v_fmac_f32_e32 v42, v21, v19
	v_mul_f32_e32 v19, v22, v19
	;; [unrolled: 31-line block ×3, first 2 shown]
	v_fma_f32 v51, v21, v20, -v19
	s_clause 0x1
	scratch_load_b64 v[19:20], off, off offset:64
	scratch_load_b64 v[21:22], off, off offset:72
	s_waitcnt vmcnt(1)
	v_mul_f32_e32 v52, v20, v18
	s_delay_alu instid0(VALU_DEP_1) | instskip(SKIP_1) | instid1(VALU_DEP_1)
	v_fmac_f32_e32 v52, v19, v17
	v_mul_f32_e32 v17, v20, v17
	v_fma_f32 v53, v19, v18, -v17
	ds_load_2addr_b64 v[17:20], v164 offset0:152 offset1:252
	s_waitcnt vmcnt(0) lgkmcnt(0)
	v_mul_f32_e32 v54, v22, v18
	s_delay_alu instid0(VALU_DEP_1) | instskip(SKIP_1) | instid1(VALU_DEP_1)
	v_fmac_f32_e32 v54, v21, v17
	v_mul_f32_e32 v17, v22, v17
	v_fma_f32 v55, v21, v18, -v17
	scratch_load_b64 v[17:18], off, off offset:80 ; 8-byte Folded Reload
	s_waitcnt vmcnt(0)
	v_mul_f32_e32 v56, v18, v20
	v_dual_mov_b32 v22, v18 :: v_dual_mov_b32 v21, v17
	s_delay_alu instid0(VALU_DEP_2) | instskip(NEXT) | instid1(VALU_DEP_2)
	v_fmac_f32_e32 v56, v17, v19
	v_mul_f32_e32 v17, v22, v19
	s_delay_alu instid0(VALU_DEP_1) | instskip(SKIP_4) | instid1(VALU_DEP_1)
	v_fma_f32 v57, v21, v20, -v17
	scratch_load_b64 v[21:22], off, off offset:8 ; 8-byte Folded Reload
	ds_load_2addr_b64 v[17:20], v218 offset0:40 offset1:140
	s_waitcnt vmcnt(0) lgkmcnt(0)
	v_mul_f32_e32 v58, v22, v20
	v_fmac_f32_e32 v58, v21, v19
	v_mul_f32_e32 v19, v22, v19
	s_delay_alu instid0(VALU_DEP_1)
	v_fma_f32 v59, v21, v20, -v19
	s_clause 0x1
	scratch_load_b64 v[19:20], off, off offset:40
	scratch_load_b64 v[21:22], off, off offset:48
	s_waitcnt vmcnt(1)
	v_mul_f32_e32 v60, v20, v18
	s_delay_alu instid0(VALU_DEP_1) | instskip(SKIP_1) | instid1(VALU_DEP_1)
	v_fmac_f32_e32 v60, v19, v17
	v_mul_f32_e32 v17, v20, v17
	v_fma_f32 v61, v19, v18, -v17
	ds_load_2addr_b64 v[17:20], v189 offset0:112 offset1:212
	s_waitcnt vmcnt(0) lgkmcnt(0)
	v_mul_f32_e32 v62, v22, v18
	s_delay_alu instid0(VALU_DEP_1) | instskip(SKIP_1) | instid1(VALU_DEP_1)
	v_fmac_f32_e32 v62, v21, v17
	v_mul_f32_e32 v17, v22, v17
	v_fma_f32 v63, v21, v18, -v17
	scratch_load_b64 v[21:22], off, off offset:56 ; 8-byte Folded Reload
	s_waitcnt vmcnt(0)
	v_mul_f32_e32 v64, v22, v20
	v_mul_f32_e32 v17, v22, v19
	s_delay_alu instid0(VALU_DEP_2) | instskip(NEXT) | instid1(VALU_DEP_2)
	v_fmac_f32_e32 v64, v21, v19
	v_fma_f32 v65, v21, v20, -v17
	scratch_load_b64 v[21:22], off, off     ; 8-byte Folded Reload
	s_waitcnt vmcnt(0)
	v_mad_u64_u32 v[17:18], null, s6, v21, 0
	s_delay_alu instid0(VALU_DEP_1) | instskip(NEXT) | instid1(VALU_DEP_1)
	v_mad_u64_u32 v[19:20], null, s7, v21, v[18:19]
	v_mov_b32_e32 v18, v19
	v_mad_u64_u32 v[19:20], null, s4, v66, 0
	s_delay_alu instid0(VALU_DEP_2) | instskip(NEXT) | instid1(VALU_DEP_2)
	v_lshlrev_b64 v[17:18], 3, v[17:18]
	v_mad_u64_u32 v[21:22], null, s5, v66, v[20:21]
	s_mulk_i32 s5, 0xaec0
	s_delay_alu instid0(SALU_CYCLE_1) | instskip(NEXT) | instid1(VALU_DEP_1)
	s_sub_i32 s5, s5, s4
	v_mov_b32_e32 v20, v21
	s_delay_alu instid0(VALU_DEP_3) | instskip(SKIP_1) | instid1(VALU_DEP_3)
	v_add_co_u32 v21, vcc_lo, s0, v17
	v_add_co_ci_u32_e32 v22, vcc_lo, s1, v18, vcc_lo
	v_lshlrev_b64 v[17:18], 3, v[19:20]
	v_cvt_f64_f32_e32 v[19:20], v0
	v_cvt_f64_f32_e32 v[0:1], v1
	s_mov_b32 s0, 0xc3ece2a5
	s_mov_b32 s1, 0x3f35d867
	s_delay_alu instid0(VALU_DEP_3) | instskip(SKIP_4) | instid1(VALU_DEP_3)
	v_add_co_u32 v17, vcc_lo, v21, v17
	v_add_co_ci_u32_e32 v18, vcc_lo, v22, v18, vcc_lo
	v_cvt_f64_f32_e32 v[21:22], v28
	v_mul_f64 v[19:20], v[19:20], s[0:1]
	v_mul_f64 v[0:1], v[0:1], s[0:1]
	;; [unrolled: 1-line block ×3, first 2 shown]
	s_delay_alu instid0(VALU_DEP_3) | instskip(NEXT) | instid1(VALU_DEP_3)
	v_cvt_f32_f64_e32 v19, v[19:20]
	v_cvt_f32_f64_e32 v20, v[0:1]
	v_cvt_f64_f32_e32 v[0:1], v27
	v_cvt_f64_f32_e32 v[27:28], v41
	global_store_b64 v[17:18], v[19:20], off
	v_mul_f64 v[0:1], v[0:1], s[0:1]
	v_cvt_f64_f32_e32 v[19:20], v8
	v_cvt_f64_f32_e32 v[8:9], v9
	v_add_co_u32 v17, vcc_lo, v17, s3
	v_add_co_ci_u32_e32 v18, vcc_lo, s2, v18, vcc_lo
	v_mul_f64 v[27:28], v[27:28], s[0:1]
	v_cvt_f32_f64_e32 v0, v[0:1]
	v_cvt_f32_f64_e32 v1, v[21:22]
	v_mul_f64 v[19:20], v[19:20], s[0:1]
	v_mul_f64 v[8:9], v[8:9], s[0:1]
	v_cvt_f64_f32_e32 v[21:22], v24
	global_store_b64 v[17:18], v[0:1], off
	v_add_co_u32 v0, vcc_lo, v17, s3
	v_cvt_f32_f64_e32 v19, v[19:20]
	v_cvt_f32_f64_e32 v20, v[8:9]
	v_add_co_ci_u32_e32 v1, vcc_lo, s2, v18, vcc_lo
	v_cvt_f64_f32_e32 v[8:9], v34
	v_cvt_f64_f32_e32 v[17:18], v35
	v_mul_f64 v[21:22], v[21:22], s[0:1]
	global_store_b64 v[0:1], v[19:20], off
	v_cvt_f64_f32_e32 v[19:20], v43
	v_add_co_u32 v0, vcc_lo, v0, s3
	v_mul_f64 v[8:9], v[8:9], s[0:1]
	v_mul_f64 v[17:18], v[17:18], s[0:1]
	v_add_co_ci_u32_e32 v1, vcc_lo, s2, v1, vcc_lo
	v_mul_f64 v[19:20], v[19:20], s[0:1]
	s_delay_alu instid0(VALU_DEP_4) | instskip(NEXT) | instid1(VALU_DEP_4)
	v_cvt_f32_f64_e32 v8, v[8:9]
	v_cvt_f32_f64_e32 v9, v[17:18]
	v_cvt_f64_f32_e32 v[17:18], v12
	v_cvt_f64_f32_e32 v[12:13], v13
	global_store_b64 v[0:1], v[8:9], off
	v_mul_f64 v[17:18], v[17:18], s[0:1]
	v_mul_f64 v[12:13], v[12:13], s[0:1]
	v_add_co_u32 v0, vcc_lo, v0, s3
	v_add_co_ci_u32_e32 v1, vcc_lo, s2, v1, vcc_lo
	v_cvt_f64_f32_e32 v[8:9], v25
	v_cvt_f32_f64_e32 v17, v[17:18]
	v_cvt_f32_f64_e32 v18, v[12:13]
	v_cvt_f64_f32_e32 v[12:13], v42
	v_cvt_f64_f32_e32 v[41:42], v64
	v_mul_f64 v[8:9], v[8:9], s[0:1]
	global_store_b64 v[0:1], v[17:18], off
	v_mul_f64 v[12:13], v[12:13], s[0:1]
	v_add_co_u32 v0, vcc_lo, v0, s3
	v_add_co_ci_u32_e32 v1, vcc_lo, s2, v1, vcc_lo
	v_cvt_f32_f64_e32 v8, v[8:9]
	v_cvt_f64_f32_e32 v[17:18], v59
	v_mul_f64 v[41:42], v[41:42], s[0:1]
	v_cvt_f32_f64_e32 v12, v[12:13]
	v_cvt_f32_f64_e32 v13, v[19:20]
	v_cvt_f64_f32_e32 v[19:20], v23
	v_cvt_f64_f32_e32 v[23:24], v51
	v_mul_f64 v[17:18], v[17:18], s[0:1]
	global_store_b64 v[0:1], v[12:13], off
	v_mul_f64 v[19:20], v[19:20], s[0:1]
	v_cvt_f64_f32_e32 v[12:13], v26
	v_mul_f64 v[23:24], v[23:24], s[0:1]
	v_add_co_u32 v0, vcc_lo, v0, s3
	v_add_co_ci_u32_e32 v1, vcc_lo, s2, v1, vcc_lo
	v_cvt_f32_f64_e32 v19, v[19:20]
	v_cvt_f32_f64_e32 v20, v[21:22]
	v_cvt_f64_f32_e32 v[21:22], v50
	v_mul_f64 v[12:13], v[12:13], s[0:1]
	global_store_b64 v[0:1], v[19:20], off
	v_mul_f64 v[21:22], v[21:22], s[0:1]
	v_cvt_f32_f64_e32 v9, v[12:13]
	v_add_co_u32 v0, vcc_lo, v0, s3
	v_add_co_ci_u32_e32 v1, vcc_lo, s2, v1, vcc_lo
	v_cvt_f64_f32_e32 v[12:13], v58
	v_cvt_f32_f64_e32 v21, v[21:22]
	v_cvt_f32_f64_e32 v22, v[23:24]
	v_cvt_f64_f32_e32 v[23:24], v63
	s_delay_alu instid0(VALU_DEP_4)
	v_mul_f64 v[12:13], v[12:13], s[0:1]
	global_store_b64 v[0:1], v[21:22], off
	v_add_co_u32 v0, vcc_lo, v0, s3
	v_add_co_ci_u32_e32 v1, vcc_lo, s2, v1, vcc_lo
	v_cvt_f32_f64_e32 v12, v[12:13]
	v_cvt_f32_f64_e32 v13, v[17:18]
	v_cvt_f64_f32_e32 v[17:18], v31
	global_store_b64 v[0:1], v[8:9], off
	v_cvt_f64_f32_e32 v[8:9], v2
	v_cvt_f64_f32_e32 v[2:3], v3
	v_add_co_u32 v0, vcc_lo, v0, s3
	v_add_co_ci_u32_e32 v1, vcc_lo, s2, v1, vcc_lo
	v_cvt_f64_f32_e32 v[21:22], v47
	s_delay_alu instid0(VALU_DEP_2) | instskip(NEXT) | instid1(VALU_DEP_1)
	v_mad_u64_u32 v[19:20], null, 0xffffaec0, s4, v[0:1]
	v_add_nc_u32_e32 v20, s5, v20
	global_store_b64 v[0:1], v[12:13], off
	v_mul_f64 v[17:18], v[17:18], s[0:1]
	v_cvt_f64_f32_e32 v[12:13], v39
	v_mul_f64 v[8:9], v[8:9], s[0:1]
	v_mul_f64 v[2:3], v[2:3], s[0:1]
	;; [unrolled: 1-line block ×3, first 2 shown]
	s_delay_alu instid0(VALU_DEP_4) | instskip(NEXT) | instid1(VALU_DEP_4)
	v_mul_f64 v[12:13], v[12:13], s[0:1]
	v_cvt_f32_f64_e32 v8, v[8:9]
	s_delay_alu instid0(VALU_DEP_4) | instskip(SKIP_1) | instid1(VALU_DEP_4)
	v_cvt_f32_f64_e32 v9, v[2:3]
	v_cvt_f64_f32_e32 v[2:3], v30
	v_cvt_f32_f64_e32 v1, v[12:13]
	v_cvt_f64_f32_e32 v[12:13], v10
	global_store_b64 v[19:20], v[8:9], off
	v_mul_f64 v[2:3], v[2:3], s[0:1]
	v_cvt_f64_f32_e32 v[8:9], v6
	v_mul_f64 v[12:13], v[12:13], s[0:1]
	s_delay_alu instid0(VALU_DEP_3) | instskip(SKIP_4) | instid1(VALU_DEP_3)
	v_cvt_f32_f64_e32 v2, v[2:3]
	v_cvt_f32_f64_e32 v3, v[17:18]
	v_cvt_f64_f32_e32 v[17:18], v4
	v_cvt_f64_f32_e32 v[4:5], v5
	v_mul_f64 v[8:9], v[8:9], s[0:1]
	v_mul_f64 v[17:18], v[17:18], s[0:1]
	s_delay_alu instid0(VALU_DEP_3) | instskip(NEXT) | instid1(VALU_DEP_3)
	v_mul_f64 v[4:5], v[4:5], s[0:1]
	v_cvt_f32_f64_e32 v8, v[8:9]
	v_cvt_f32_f64_e32 v9, v[12:13]
	v_cvt_f64_f32_e32 v[12:13], v54
	v_cvt_f32_f64_e32 v17, v[17:18]
	v_cvt_f32_f64_e32 v18, v[4:5]
	v_cvt_f64_f32_e32 v[4:5], v38
	s_delay_alu instid0(VALU_DEP_4) | instskip(NEXT) | instid1(VALU_DEP_2)
	v_mul_f64 v[12:13], v[12:13], s[0:1]
	v_mul_f64 v[4:5], v[4:5], s[0:1]
	s_delay_alu instid0(VALU_DEP_2) | instskip(NEXT) | instid1(VALU_DEP_2)
	v_cvt_f32_f64_e32 v12, v[12:13]
	v_cvt_f32_f64_e32 v0, v[4:5]
	v_add_co_u32 v4, vcc_lo, v19, s3
	v_add_co_ci_u32_e32 v5, vcc_lo, s2, v20, vcc_lo
	v_cvt_f64_f32_e32 v[19:20], v46
	global_store_b64 v[4:5], v[2:3], off
	v_add_co_u32 v2, vcc_lo, v4, s3
	v_add_co_ci_u32_e32 v3, vcc_lo, s2, v5, vcc_lo
	v_cvt_f64_f32_e32 v[4:5], v7
	v_cvt_f64_f32_e32 v[6:7], v11
	v_cvt_f32_f64_e32 v11, v[21:22]
	v_cvt_f64_f32_e32 v[21:22], v15
	v_cvt_f64_f32_e32 v[15:16], v16
	global_store_b64 v[2:3], v[17:18], off
	v_add_co_u32 v2, vcc_lo, v2, s3
	v_add_co_ci_u32_e32 v3, vcc_lo, s2, v3, vcc_lo
	global_store_b64 v[2:3], v[0:1], off
	v_mul_f64 v[19:20], v[19:20], s[0:1]
	v_mul_f64 v[4:5], v[4:5], s[0:1]
	;; [unrolled: 1-line block ×5, first 2 shown]
	v_cvt_f32_f64_e32 v10, v[19:20]
	v_cvt_f64_f32_e32 v[19:20], v55
	v_cvt_f32_f64_e32 v4, v[4:5]
	v_cvt_f32_f64_e32 v5, v[6:7]
	v_cvt_f64_f32_e32 v[6:7], v62
	v_cvt_f32_f64_e32 v17, v[21:22]
	v_cvt_f32_f64_e32 v18, v[15:16]
	v_add_co_u32 v15, vcc_lo, v2, s3
	v_add_co_ci_u32_e32 v16, vcc_lo, s2, v3, vcc_lo
	v_cvt_f64_f32_e32 v[21:22], v37
	s_delay_alu instid0(VALU_DEP_3) | instskip(NEXT) | instid1(VALU_DEP_3)
	v_add_co_u32 v0, vcc_lo, v15, s3
	v_add_co_ci_u32_e32 v1, vcc_lo, s2, v16, vcc_lo
	global_store_b64 v[15:16], v[8:9], off
	v_add_co_u32 v8, vcc_lo, v0, s3
	v_add_co_ci_u32_e32 v9, vcc_lo, s2, v1, vcc_lo
	v_cvt_f64_f32_e32 v[37:38], v60
	global_store_b64 v[0:1], v[10:11], off
	v_mul_f64 v[19:20], v[19:20], s[0:1]
	v_cvt_f64_f32_e32 v[0:1], v14
	v_cvt_f64_f32_e32 v[10:11], v29
	v_cvt_f64_f32_e32 v[14:15], v32
	v_cvt_f64_f32_e32 v[29:30], v44
	v_cvt_f64_f32_e32 v[31:32], v45
	v_cvt_f64_f32_e32 v[43:44], v65
	global_store_b64 v[8:9], v[4:5], off
	v_mul_f64 v[2:3], v[6:7], s[0:1]
	v_mul_f64 v[6:7], v[23:24], s[0:1]
	v_add_co_u32 v4, vcc_lo, v8, s3
	v_add_co_ci_u32_e32 v5, vcc_lo, s2, v9, vcc_lo
	v_cvt_f64_f32_e32 v[8:9], v33
	s_delay_alu instid0(VALU_DEP_3) | instskip(NEXT) | instid1(VALU_DEP_3)
	v_add_co_u32 v25, vcc_lo, v4, s3
	v_add_co_ci_u32_e32 v26, vcc_lo, s2, v5, vcc_lo
	v_cvt_f64_f32_e32 v[23:24], v40
	v_cvt_f64_f32_e32 v[33:34], v48
	s_delay_alu instid0(VALU_DEP_4)
	v_add_co_u32 v16, vcc_lo, v25, s3
	v_cvt_f64_f32_e32 v[39:40], v61
	v_mul_f64 v[37:38], v[37:38], s[0:1]
	v_cvt_f32_f64_e32 v13, v[19:20]
	v_cvt_f64_f32_e32 v[19:20], v36
	v_cvt_f64_f32_e32 v[35:36], v49
	global_store_b64 v[4:5], v[12:13], off
	global_store_b64 v[25:26], v[17:18], off
	v_cvt_f64_f32_e32 v[4:5], v52
	v_cvt_f64_f32_e32 v[12:13], v53
	v_add_co_ci_u32_e32 v17, vcc_lo, s2, v26, vcc_lo
	v_cvt_f32_f64_e32 v2, v[2:3]
	v_cvt_f32_f64_e32 v3, v[6:7]
	v_cvt_f64_f32_e32 v[6:7], v56
	v_cvt_f64_f32_e32 v[25:26], v57
	v_mul_f64 v[0:1], v[0:1], s[0:1]
	v_mul_f64 v[10:11], v[10:11], s[0:1]
	;; [unrolled: 1-line block ×15, first 2 shown]
	global_store_b64 v[16:17], v[2:3], off
	v_mul_f64 v[6:7], v[6:7], s[0:1]
	v_mul_f64 v[24:25], v[25:26], s[0:1]
	v_cvt_f32_f64_e32 v0, v[0:1]
	v_cvt_f32_f64_e32 v1, v[10:11]
	;; [unrolled: 1-line block ×4, first 2 shown]
	v_mad_u64_u32 v[14:15], null, 0xffffaec0, s4, v[16:17]
	v_cvt_f32_f64_e32 v8, v[18:19]
	v_cvt_f32_f64_e32 v9, v[20:21]
	;; [unrolled: 1-line block ×6, first 2 shown]
	v_add_nc_u32_e32 v15, s5, v15
	v_add_co_u32 v26, vcc_lo, v14, s3
	v_cvt_f32_f64_e32 v22, v[33:34]
	v_cvt_f32_f64_e32 v23, v[35:36]
	s_delay_alu instid0(VALU_DEP_4)
	v_add_co_ci_u32_e32 v27, vcc_lo, s2, v15, vcc_lo
	v_cvt_f32_f64_e32 v28, v[41:42]
	v_cvt_f32_f64_e32 v29, v[43:44]
	;; [unrolled: 1-line block ×4, first 2 shown]
	v_add_co_u32 v12, vcc_lo, v26, s3
	v_add_co_ci_u32_e32 v13, vcc_lo, s2, v27, vcc_lo
	v_cvt_f32_f64_e32 v6, v[6:7]
	v_cvt_f32_f64_e32 v7, v[24:25]
	;; [unrolled: 1-line block ×4, first 2 shown]
	v_add_co_u32 v30, vcc_lo, v12, s3
	v_add_co_ci_u32_e32 v31, vcc_lo, s2, v13, vcc_lo
	global_store_b64 v[14:15], v[0:1], off
	v_add_co_u32 v2, vcc_lo, v30, s3
	v_add_co_ci_u32_e32 v3, vcc_lo, s2, v31, vcc_lo
	global_store_b64 v[26:27], v[10:11], off
	;; [unrolled: 3-line block ×5, first 2 shown]
	v_add_co_u32 v12, vcc_lo, v8, s3
	v_add_co_ci_u32_e32 v13, vcc_lo, s2, v9, vcc_lo
	s_delay_alu instid0(VALU_DEP_2) | instskip(NEXT) | instid1(VALU_DEP_2)
	v_add_co_u32 v2, vcc_lo, v12, s3
	v_add_co_ci_u32_e32 v3, vcc_lo, s2, v13, vcc_lo
	global_store_b64 v[0:1], v[22:23], off
	global_store_b64 v[10:11], v[4:5], off
	;; [unrolled: 1-line block ×5, first 2 shown]
.LBB0_2:
	s_nop 0
	s_sendmsg sendmsg(MSG_DEALLOC_VGPRS)
	s_endpgm
	.section	.rodata,"a",@progbits
	.p2align	6, 0x0
	.amdhsa_kernel bluestein_single_fwd_len3000_dim1_sp_op_CI_CI
		.amdhsa_group_segment_fixed_size 24000
		.amdhsa_private_segment_fixed_size 324
		.amdhsa_kernarg_size 104
		.amdhsa_user_sgpr_count 15
		.amdhsa_user_sgpr_dispatch_ptr 0
		.amdhsa_user_sgpr_queue_ptr 0
		.amdhsa_user_sgpr_kernarg_segment_ptr 1
		.amdhsa_user_sgpr_dispatch_id 0
		.amdhsa_user_sgpr_private_segment_size 0
		.amdhsa_wavefront_size32 1
		.amdhsa_uses_dynamic_stack 0
		.amdhsa_enable_private_segment 1
		.amdhsa_system_sgpr_workgroup_id_x 1
		.amdhsa_system_sgpr_workgroup_id_y 0
		.amdhsa_system_sgpr_workgroup_id_z 0
		.amdhsa_system_sgpr_workgroup_info 0
		.amdhsa_system_vgpr_workitem_id 0
		.amdhsa_next_free_vgpr 256
		.amdhsa_next_free_sgpr 20
		.amdhsa_reserve_vcc 1
		.amdhsa_float_round_mode_32 0
		.amdhsa_float_round_mode_16_64 0
		.amdhsa_float_denorm_mode_32 3
		.amdhsa_float_denorm_mode_16_64 3
		.amdhsa_dx10_clamp 1
		.amdhsa_ieee_mode 1
		.amdhsa_fp16_overflow 0
		.amdhsa_workgroup_processor_mode 1
		.amdhsa_memory_ordered 1
		.amdhsa_forward_progress 0
		.amdhsa_shared_vgpr_count 0
		.amdhsa_exception_fp_ieee_invalid_op 0
		.amdhsa_exception_fp_denorm_src 0
		.amdhsa_exception_fp_ieee_div_zero 0
		.amdhsa_exception_fp_ieee_overflow 0
		.amdhsa_exception_fp_ieee_underflow 0
		.amdhsa_exception_fp_ieee_inexact 0
		.amdhsa_exception_int_div_zero 0
	.end_amdhsa_kernel
	.text
.Lfunc_end0:
	.size	bluestein_single_fwd_len3000_dim1_sp_op_CI_CI, .Lfunc_end0-bluestein_single_fwd_len3000_dim1_sp_op_CI_CI
                                        ; -- End function
	.section	.AMDGPU.csdata,"",@progbits
; Kernel info:
; codeLenInByte = 35004
; NumSgprs: 22
; NumVgprs: 256
; ScratchSize: 324
; MemoryBound: 0
; FloatMode: 240
; IeeeMode: 1
; LDSByteSize: 24000 bytes/workgroup (compile time only)
; SGPRBlocks: 2
; VGPRBlocks: 31
; NumSGPRsForWavesPerEU: 22
; NumVGPRsForWavesPerEU: 256
; Occupancy: 5
; WaveLimiterHint : 1
; COMPUTE_PGM_RSRC2:SCRATCH_EN: 1
; COMPUTE_PGM_RSRC2:USER_SGPR: 15
; COMPUTE_PGM_RSRC2:TRAP_HANDLER: 0
; COMPUTE_PGM_RSRC2:TGID_X_EN: 1
; COMPUTE_PGM_RSRC2:TGID_Y_EN: 0
; COMPUTE_PGM_RSRC2:TGID_Z_EN: 0
; COMPUTE_PGM_RSRC2:TIDIG_COMP_CNT: 0
	.text
	.p2alignl 7, 3214868480
	.fill 96, 4, 3214868480
	.type	__hip_cuid_862694973e14c610,@object ; @__hip_cuid_862694973e14c610
	.section	.bss,"aw",@nobits
	.globl	__hip_cuid_862694973e14c610
__hip_cuid_862694973e14c610:
	.byte	0                               ; 0x0
	.size	__hip_cuid_862694973e14c610, 1

	.ident	"AMD clang version 19.0.0git (https://github.com/RadeonOpenCompute/llvm-project roc-6.4.0 25133 c7fe45cf4b819c5991fe208aaa96edf142730f1d)"
	.section	".note.GNU-stack","",@progbits
	.addrsig
	.addrsig_sym __hip_cuid_862694973e14c610
	.amdgpu_metadata
---
amdhsa.kernels:
  - .args:
      - .actual_access:  read_only
        .address_space:  global
        .offset:         0
        .size:           8
        .value_kind:     global_buffer
      - .actual_access:  read_only
        .address_space:  global
        .offset:         8
        .size:           8
        .value_kind:     global_buffer
      - .actual_access:  read_only
        .address_space:  global
        .offset:         16
        .size:           8
        .value_kind:     global_buffer
      - .actual_access:  read_only
        .address_space:  global
        .offset:         24
        .size:           8
        .value_kind:     global_buffer
      - .actual_access:  read_only
        .address_space:  global
        .offset:         32
        .size:           8
        .value_kind:     global_buffer
      - .offset:         40
        .size:           8
        .value_kind:     by_value
      - .address_space:  global
        .offset:         48
        .size:           8
        .value_kind:     global_buffer
      - .address_space:  global
        .offset:         56
        .size:           8
        .value_kind:     global_buffer
      - .address_space:  global
        .offset:         64
        .size:           8
        .value_kind:     global_buffer
      - .address_space:  global
        .offset:         72
        .size:           8
        .value_kind:     global_buffer
      - .offset:         80
        .size:           4
        .value_kind:     by_value
      - .address_space:  global
        .offset:         88
        .size:           8
        .value_kind:     global_buffer
      - .address_space:  global
        .offset:         96
        .size:           8
        .value_kind:     global_buffer
    .group_segment_fixed_size: 24000
    .kernarg_segment_align: 8
    .kernarg_segment_size: 104
    .language:       OpenCL C
    .language_version:
      - 2
      - 0
    .max_flat_workgroup_size: 100
    .name:           bluestein_single_fwd_len3000_dim1_sp_op_CI_CI
    .private_segment_fixed_size: 324
    .sgpr_count:     22
    .sgpr_spill_count: 0
    .symbol:         bluestein_single_fwd_len3000_dim1_sp_op_CI_CI.kd
    .uniform_work_group_size: 1
    .uses_dynamic_stack: false
    .vgpr_count:     256
    .vgpr_spill_count: 80
    .wavefront_size: 32
    .workgroup_processor_mode: 1
amdhsa.target:   amdgcn-amd-amdhsa--gfx1100
amdhsa.version:
  - 1
  - 2
...

	.end_amdgpu_metadata
